;; amdgpu-corpus repo=ROCm/rocFFT kind=compiled arch=gfx1201 opt=O3
	.text
	.amdgcn_target "amdgcn-amd-amdhsa--gfx1201"
	.amdhsa_code_object_version 6
	.protected	bluestein_single_fwd_len1352_dim1_half_op_CI_CI ; -- Begin function bluestein_single_fwd_len1352_dim1_half_op_CI_CI
	.globl	bluestein_single_fwd_len1352_dim1_half_op_CI_CI
	.p2align	8
	.type	bluestein_single_fwd_len1352_dim1_half_op_CI_CI,@function
bluestein_single_fwd_len1352_dim1_half_op_CI_CI: ; @bluestein_single_fwd_len1352_dim1_half_op_CI_CI
; %bb.0:
	s_load_b128 s[12:15], s[0:1], 0x28
	v_mul_u32_u24_e32 v1, 0x4ed, v0
	s_mov_b32 s2, exec_lo
	v_mov_b32_e32 v58, 0
	s_delay_alu instid0(VALU_DEP_2) | instskip(NEXT) | instid1(VALU_DEP_1)
	v_lshrrev_b32_e32 v1, 16, v1
	v_add_nc_u32_e32 v57, ttmp9, v1
	s_wait_kmcnt 0x0
	s_delay_alu instid0(VALU_DEP_1)
	v_cmpx_gt_u64_e64 s[12:13], v[57:58]
	s_cbranch_execz .LBB0_10
; %bb.1:
	s_clause 0x1
	s_load_b128 s[4:7], s[0:1], 0x18
	s_load_b128 s[8:11], s[0:1], 0x0
	v_mul_lo_u16 v1, v1, 52
	s_movk_i32 s2, 0xf640
	s_mov_b32 s3, -1
	s_load_b64 s[12:13], s[0:1], 0x38
	s_delay_alu instid0(VALU_DEP_1) | instskip(NEXT) | instid1(VALU_DEP_1)
	v_sub_nc_u16 v66, v0, v1
	v_and_b32_e32 v115, 0xffff, v66
	s_delay_alu instid0(VALU_DEP_1)
	v_or_b32_e32 v9, 0x340, v115
	s_wait_kmcnt 0x0
	s_load_b128 s[16:19], s[4:5], 0x0
	s_wait_kmcnt 0x0
	v_mad_co_u64_u32 v[0:1], null, s18, v57, 0
	v_mad_co_u64_u32 v[2:3], null, s16, v115, 0
	v_mad_co_u64_u32 v[4:5], null, s16, v9, 0
	s_mul_u64 s[4:5], s[16:17], 0xa90
	s_mul_u64 s[2:3], s[16:17], s[2:3]
	s_delay_alu instid0(VALU_DEP_2) | instskip(NEXT) | instid1(VALU_DEP_2)
	v_mad_co_u64_u32 v[6:7], null, s19, v57, v[1:2]
	v_mad_co_u64_u32 v[7:8], null, s17, v115, v[3:4]
	s_delay_alu instid0(VALU_DEP_2) | instskip(NEXT) | instid1(VALU_DEP_4)
	v_dual_mov_b32 v1, v6 :: v_dual_lshlrev_b32 v72, 2, v115
	v_mad_co_u64_u32 v[5:6], null, s17, v9, v[5:6]
	s_delay_alu instid0(VALU_DEP_3)
	v_mov_b32_e32 v3, v7
	s_clause 0x8
	global_load_b32 v111, v72, s[8:9] offset:3120
	global_load_b32 v119, v72, s[8:9]
	global_load_b32 v118, v72, s[8:9] offset:208
	global_load_b32 v112, v72, s[8:9] offset:416
	;; [unrolled: 1-line block ×7, first 2 shown]
	v_lshlrev_b64_e32 v[0:1], 2, v[0:1]
	s_clause 0xb
	global_load_b32 v107, v72, s[8:9] offset:3328
	global_load_b32 v103, v72, s[8:9] offset:3536
	;; [unrolled: 1-line block ×12, first 2 shown]
	v_lshlrev_b64_e32 v[2:3], 2, v[2:3]
	s_clause 0x4
	global_load_b32 v117, v72, s[8:9] offset:2912
	global_load_b32 v122, v72, s[8:9] offset:2704
	;; [unrolled: 1-line block ×5, first 2 shown]
	v_add_co_u32 v6, vcc_lo, s14, v0
	v_add_co_ci_u32_e32 v7, vcc_lo, s15, v1, vcc_lo
	scratch_store_b32 off, v9, off          ; 4-byte Folded Spill
	v_add_co_u32 v0, vcc_lo, v6, v2
	s_wait_alu 0xfffd
	v_add_co_ci_u32_e32 v1, vcc_lo, v7, v3, vcc_lo
	v_lshlrev_b64_e32 v[2:3], 2, v[4:5]
	s_delay_alu instid0(VALU_DEP_3) | instskip(SKIP_1) | instid1(VALU_DEP_3)
	v_add_co_u32 v4, vcc_lo, v0, s4
	s_wait_alu 0xfffd
	v_add_co_ci_u32_e32 v5, vcc_lo, s5, v1, vcc_lo
	global_load_b32 v10, v[0:1], off
	v_add_co_u32 v2, vcc_lo, v6, v2
	s_wait_alu 0xfffd
	v_add_co_ci_u32_e32 v3, vcc_lo, v7, v3, vcc_lo
	v_add_co_u32 v6, vcc_lo, v4, s2
	s_wait_alu 0xfffd
	v_add_co_ci_u32_e32 v7, vcc_lo, s3, v5, vcc_lo
	s_clause 0x1
	global_load_b32 v11, v[2:3], off
	global_load_b32 v12, v[4:5], off
	v_add_nc_u32_e32 v60, 0xa00, v72
	global_load_b32 v13, v[6:7], off
	v_add_co_u32 v0, vcc_lo, v6, s4
	s_wait_alu 0xfffd
	v_add_co_ci_u32_e32 v1, vcc_lo, s5, v7, vcc_lo
	v_add_nc_u32_e32 v64, 0x200, v72
	s_delay_alu instid0(VALU_DEP_3)
	v_add_co_u32 v2, vcc_lo, v0, s2
	global_load_b32 v14, v[0:1], off
	s_wait_alu 0xfffd
	v_add_co_ci_u32_e32 v3, vcc_lo, s3, v1, vcc_lo
	v_add_co_u32 v4, vcc_lo, v2, s4
	v_add_nc_u32_e32 v56, 0x400, v72
	s_wait_alu 0xfffd
	s_delay_alu instid0(VALU_DEP_3) | instskip(NEXT) | instid1(VALU_DEP_3)
	v_add_co_ci_u32_e32 v5, vcc_lo, s5, v3, vcc_lo
	v_add_co_u32 v8, vcc_lo, v4, s2
	global_load_b32 v15, v[2:3], off
	global_load_b32 v4, v[4:5], off
	s_wait_alu 0xfffd
	v_add_co_ci_u32_e32 v9, vcc_lo, s3, v5, vcc_lo
	v_add_nc_u32_e32 v68, 0x1000, v72
	v_add_nc_u32_e32 v65, 0x800, v72
	;; [unrolled: 1-line block ×3, first 2 shown]
	s_delay_alu instid0(VALU_DEP_4)
	v_mad_co_u64_u32 v[6:7], null, 0xd0, s16, v[8:9]
	global_load_b32 v5, v[8:9], off
	v_mov_b32_e32 v0, v7
	v_and_b32_e32 v38, 1, v115
	v_add_co_u32 v48, null, v115, 52
	v_lshlrev_b32_e32 v172, 3, v115
	s_delay_alu instid0(VALU_DEP_4) | instskip(NEXT) | instid1(VALU_DEP_4)
	v_mad_co_u64_u32 v[0:1], null, 0xd0, s17, v[0:1]
	v_mul_u32_u24_e32 v29, 12, v38
	s_delay_alu instid0(VALU_DEP_4) | instskip(NEXT) | instid1(VALU_DEP_4)
	v_lshlrev_b32_e32 v136, 3, v48
	v_add_nc_u32_e32 v28, 0x400, v172
	s_delay_alu instid0(VALU_DEP_3) | instskip(SKIP_3) | instid1(VALU_DEP_2)
	v_lshlrev_b32_e32 v29, 2, v29
	v_mov_b32_e32 v7, v0
	v_add_co_u32 v0, vcc_lo, v6, s4
	s_wait_alu 0xfffd
	v_add_co_ci_u32_e32 v1, vcc_lo, s5, v7, vcc_lo
	s_delay_alu instid0(VALU_DEP_2)
	v_add_co_u32 v2, vcc_lo, v0, s2
	global_load_b32 v8, v[6:7], off
	s_wait_alu 0xfffd
	v_add_co_ci_u32_e32 v3, vcc_lo, s3, v1, vcc_lo
	global_load_b32 v6, v[0:1], off
	v_add_co_u32 v0, vcc_lo, v2, s4
	s_wait_alu 0xfffd
	v_add_co_ci_u32_e32 v1, vcc_lo, s5, v3, vcc_lo
	global_load_b32 v7, v[2:3], off
	global_load_b32 v9, v[0:1], off
	v_add_co_u32 v0, vcc_lo, v0, s2
	s_wait_alu 0xfffd
	v_add_co_ci_u32_e32 v1, vcc_lo, s3, v1, vcc_lo
	s_delay_alu instid0(VALU_DEP_2) | instskip(SKIP_1) | instid1(VALU_DEP_2)
	v_add_co_u32 v2, vcc_lo, v0, s4
	s_wait_alu 0xfffd
	v_add_co_ci_u32_e32 v3, vcc_lo, s5, v1, vcc_lo
	global_load_b32 v16, v[0:1], off
	v_add_co_u32 v0, vcc_lo, v2, s2
	s_wait_alu 0xfffd
	v_add_co_ci_u32_e32 v1, vcc_lo, s3, v3, vcc_lo
	global_load_b32 v17, v[2:3], off
	global_load_b32 v18, v[0:1], off
	v_add_co_u32 v0, vcc_lo, v0, s4
	s_wait_alu 0xfffd
	v_add_co_ci_u32_e32 v1, vcc_lo, s5, v1, vcc_lo
	s_delay_alu instid0(VALU_DEP_2) | instskip(SKIP_1) | instid1(VALU_DEP_2)
	v_add_co_u32 v2, vcc_lo, v0, s2
	s_wait_alu 0xfffd
	v_add_co_ci_u32_e32 v3, vcc_lo, s3, v1, vcc_lo
	global_load_b32 v19, v[0:1], off
	global_load_b32 v20, v[2:3], off
	v_add_co_u32 v0, vcc_lo, v2, s4
	s_wait_alu 0xfffd
	v_add_co_ci_u32_e32 v1, vcc_lo, s5, v3, vcc_lo
	s_delay_alu instid0(VALU_DEP_2) | instskip(SKIP_1) | instid1(VALU_DEP_2)
	v_add_co_u32 v2, vcc_lo, v0, s2
	s_wait_alu 0xfffd
	v_add_co_ci_u32_e32 v3, vcc_lo, s3, v1, vcc_lo
	global_load_b32 v21, v[0:1], off
	v_add_co_u32 v0, vcc_lo, v2, s4
	s_wait_alu 0xfffd
	v_add_co_ci_u32_e32 v1, vcc_lo, s5, v3, vcc_lo
	global_load_b32 v22, v[2:3], off
	global_load_b32 v23, v[0:1], off
	v_add_co_u32 v0, vcc_lo, v0, s2
	s_wait_alu 0xfffd
	v_add_co_ci_u32_e32 v1, vcc_lo, s3, v1, vcc_lo
	s_delay_alu instid0(VALU_DEP_2) | instskip(SKIP_1) | instid1(VALU_DEP_2)
	v_add_co_u32 v2, vcc_lo, v0, s4
	s_wait_alu 0xfffd
	v_add_co_ci_u32_e32 v3, vcc_lo, s5, v1, vcc_lo
	global_load_b32 v24, v[0:1], off
	v_add_co_u32 v0, vcc_lo, v2, s2
	s_wait_alu 0xfffd
	v_add_co_ci_u32_e32 v1, vcc_lo, s3, v3, vcc_lo
	global_load_b32 v25, v[2:3], off
	;; [unrolled: 4-line block ×5, first 2 shown]
	global_load_b32 v1, v[2:3], off
	v_lshlrev_b16 v2, 1, v66
	v_cmp_gt_u16_e32 vcc_lo, 26, v66
	v_add_nc_u32_e32 v69, 0xc00, v72
	s_load_b128 s[4:7], s[6:7], 0x0
	s_delay_alu instid0(VALU_DEP_3) | instskip(NEXT) | instid1(VALU_DEP_1)
	v_and_b32_e32 v2, 0xffff, v2
	v_lshlrev_b32_e32 v137, 2, v2
	s_wait_loadcnt 0x33
	v_lshrrev_b32_e32 v59, 16, v111
	s_wait_loadcnt 0x32
	v_lshrrev_b32_e32 v126, 16, v119
	;; [unrolled: 2-line block ×4, first 2 shown]
	v_lshrrev_b32_e32 v121, 16, v112
	v_lshrrev_b32_e32 v58, 16, v109
	;; [unrolled: 1-line block ×3, first 2 shown]
	s_wait_loadcnt 0x29
	v_lshrrev_b32_e32 v54, 16, v103
	v_lshrrev_b32_e32 v53, 16, v100
	s_wait_loadcnt 0x28
	v_lshrrev_b32_e32 v52, 16, v98
	v_lshrrev_b32_e32 v51, 16, v96
	s_wait_loadcnt 0x1e
	v_lshrrev_b32_e32 v123, 16, v117
	s_wait_loadcnt 0x1d
	v_lshrrev_b32_e32 v125, 16, v122
	v_lshrrev_b32_e32 v50, 16, v94
	;; [unrolled: 1-line block ×11, first 2 shown]
	s_wait_loadcnt 0x1b
	v_lshrrev_b32_e32 v37, 16, v75
	v_lshrrev_b32_e32 v36, 16, v74
	s_wait_loadcnt 0x1a
	v_lshrrev_b32_e32 v35, 16, v73
	s_wait_loadcnt 0x19
	v_lshrrev_b32_e32 v2, 16, v10
	v_mul_f16_e32 v3, v126, v10
	s_delay_alu instid0(VALU_DEP_2) | instskip(NEXT) | instid1(VALU_DEP_2)
	v_mul_f16_e32 v32, v126, v2
	v_fma_f16 v2, v119, v2, -v3
	s_wait_loadcnt 0x18
	v_lshrrev_b32_e32 v30, 16, v11
	v_mul_f16_e32 v31, v34, v11
	s_wait_loadcnt 0x17
	v_lshrrev_b32_e32 v3, 16, v12
	v_mul_f16_e32 v33, v125, v12
	v_fmac_f16_e32 v32, v119, v10
	v_mul_f16_e32 v34, v34, v30
	v_fma_f16 v30, v107, v30, -v31
	v_mul_f16_e32 v10, v125, v3
	s_wait_loadcnt 0x16
	v_lshrrev_b32_e32 v31, 16, v13
	v_fma_f16 v3, v122, v3, -v33
	v_mul_f16_e32 v33, v124, v13
	v_fmac_f16_e32 v34, v107, v11
	v_fmac_f16_e32 v10, v122, v12
	v_mul_f16_e32 v11, v124, v31
	v_pack_b32_f16 v2, v32, v2
	v_fma_f16 v12, v118, v31, -v33
	s_wait_loadcnt 0x15
	v_lshrrev_b32_e32 v31, 16, v14
	v_pack_b32_f16 v3, v10, v3
	v_fmac_f16_e32 v11, v118, v13
	v_mul_f16_e32 v32, v123, v14
	v_pack_b32_f16 v30, v34, v30
	v_mul_f16_e32 v10, v123, v31
	ds_store_b32 v72, v3 offset:2704
	v_pack_b32_f16 v3, v11, v12
	s_wait_loadcnt 0x13
	v_lshrrev_b32_e32 v11, 16, v4
	v_fma_f16 v13, v117, v31, -v32
	v_lshrrev_b32_e32 v31, 16, v15
	v_mul_f16_e32 v32, v121, v15
	v_mul_f16_e32 v12, v59, v4
	s_wait_loadcnt 0x12
	v_lshrrev_b32_e32 v33, 16, v5
	v_mul_f16_e32 v34, v59, v11
	v_fmac_f16_e32 v10, v117, v14
	v_mul_f16_e32 v14, v121, v31
	v_fma_f16 v31, v112, v31, -v32
	v_fma_f16 v11, v111, v11, -v12
	v_mul_f16_e32 v12, v58, v5
	v_mul_f16_e32 v32, v58, v33
	v_fmac_f16_e32 v34, v111, v4
	v_pack_b32_f16 v4, v10, v13
	v_fmac_f16_e32 v14, v112, v15
	v_fma_f16 v10, v109, v33, -v12
	v_fmac_f16_e32 v32, v109, v5
	v_pack_b32_f16 v5, v34, v11
	ds_store_2addr_b32 v72, v2, v3 offset1:52
	v_pack_b32_f16 v3, v14, v31
	v_pack_b32_f16 v10, v32, v10
	ds_store_2addr_b32 v60, v4, v5 offset0:88 offset1:140
	ds_store_2addr_b32 v72, v3, v10 offset0:104 offset1:156
	s_wait_loadcnt 0x11
	v_lshrrev_b32_e32 v2, 16, v8
	v_mul_f16_e32 v4, v55, v8
	s_wait_loadcnt 0x10
	v_lshrrev_b32_e32 v11, 16, v6
	v_mul_f16_e32 v3, v54, v6
	v_mul_f16_e32 v5, v55, v2
	v_fma_f16 v2, v105, v2, -v4
	s_delay_alu instid0(VALU_DEP_4) | instskip(NEXT) | instid1(VALU_DEP_4)
	v_mul_f16_e32 v4, v54, v11
	v_fma_f16 v3, v103, v11, -v3
	s_delay_alu instid0(VALU_DEP_4)
	v_fmac_f16_e32 v5, v105, v8
	s_wait_loadcnt 0xf
	v_lshrrev_b32_e32 v8, 16, v7
	v_mul_f16_e32 v10, v53, v7
	v_fmac_f16_e32 v4, v103, v6
	s_wait_loadcnt 0xe
	v_lshrrev_b32_e32 v6, 16, v9
	v_pack_b32_f16 v2, v5, v2
	v_mul_f16_e32 v5, v53, v8
	v_mul_f16_e32 v11, v52, v9
	v_fma_f16 v8, v100, v8, -v10
	v_pack_b32_f16 v3, v4, v3
	v_mul_f16_e32 v4, v52, v6
	v_fmac_f16_e32 v5, v100, v7
	s_wait_loadcnt 0xd
	v_lshrrev_b32_e32 v7, 16, v16
	v_fma_f16 v6, v98, v6, -v11
	v_mul_f16_e32 v10, v51, v16
	ds_store_2addr_b32 v69, v30, v3 offset0:64 offset1:116
	v_pack_b32_f16 v3, v5, v8
	v_fmac_f16_e32 v4, v98, v9
	v_mul_f16_e32 v5, v51, v7
	s_wait_loadcnt 0xc
	v_lshrrev_b32_e32 v8, 16, v17
	v_fma_f16 v7, v96, v7, -v10
	v_mul_f16_e32 v9, v50, v17
	ds_store_2addr_b32 v64, v2, v3 offset0:80 offset1:132
	v_pack_b32_f16 v2, v4, v6
	v_fmac_f16_e32 v5, v96, v16
	v_mul_f16_e32 v3, v50, v8
	s_wait_loadcnt 0xb
	v_lshrrev_b32_e32 v4, 16, v18
	v_fma_f16 v6, v94, v8, -v9
	v_mul_f16_e32 v8, v49, v18
	v_pack_b32_f16 v5, v5, v7
	v_fmac_f16_e32 v3, v94, v17
	v_mul_f16_e32 v7, v49, v4
	s_wait_loadcnt 0xa
	v_lshrrev_b32_e32 v9, 16, v19
	v_mul_f16_e32 v10, v47, v19
	v_fma_f16 v4, v92, v4, -v8
	v_pack_b32_f16 v3, v3, v6
	v_fmac_f16_e32 v7, v92, v18
	v_mul_f16_e32 v6, v47, v9
	v_fma_f16 v8, v90, v9, -v10
	s_wait_loadcnt 0x9
	v_lshrrev_b32_e32 v9, 16, v20
	v_mul_f16_e32 v10, v46, v20
	ds_store_2addr_b32 v69, v2, v3 offset0:168 offset1:220
	v_pack_b32_f16 v2, v7, v4
	v_fmac_f16_e32 v6, v90, v19
	v_mul_f16_e32 v3, v46, v9
	s_wait_loadcnt 0x8
	v_lshrrev_b32_e32 v7, 16, v21
	v_fma_f16 v4, v89, v9, -v10
	v_mul_f16_e32 v9, v45, v21
	ds_store_2addr_b32 v56, v5, v2 offset0:56 offset1:108
	v_pack_b32_f16 v2, v6, v8
	v_fmac_f16_e32 v3, v89, v20
	v_mul_f16_e32 v5, v45, v7
	s_wait_loadcnt 0x7
	v_lshrrev_b32_e32 v6, 16, v22
	v_fma_f16 v7, v86, v7, -v9
	v_mul_f16_e32 v8, v44, v22
	v_pack_b32_f16 v3, v3, v4
	v_fmac_f16_e32 v5, v86, v21
	v_mul_f16_e32 v4, v44, v6
	s_wait_loadcnt 0x6
	v_lshrrev_b32_e32 v9, 16, v23
	v_mul_f16_e32 v10, v43, v23
	v_fma_f16 v6, v85, v6, -v8
	v_pack_b32_f16 v5, v5, v7
	v_fmac_f16_e32 v4, v85, v22
	v_mul_f16_e32 v7, v43, v9
	v_fma_f16 v8, v83, v9, -v10
	s_wait_loadcnt 0x5
	v_lshrrev_b32_e32 v9, 16, v24
	v_mul_f16_e32 v10, v42, v24
	ds_store_2addr_b32 v68, v2, v5 offset0:16 offset1:68
	v_pack_b32_f16 v2, v4, v6
	v_fmac_f16_e32 v7, v83, v23
	v_mul_f16_e32 v4, v42, v9
	v_fma_f16 v5, v81, v9, -v10
	s_wait_loadcnt 0x4
	v_lshrrev_b32_e32 v6, 16, v25
	v_mul_f16_e32 v9, v41, v25
	v_pack_b32_f16 v7, v7, v8
	v_fmac_f16_e32 v4, v81, v24
	s_wait_loadcnt 0x3
	v_lshrrev_b32_e32 v8, 16, v26
	v_mul_f16_e32 v10, v41, v6
	v_fma_f16 v6, v79, v6, -v9
	v_mul_f16_e32 v9, v39, v26
	v_pack_b32_f16 v4, v4, v5
	v_mul_f16_e32 v5, v39, v8
	s_wait_loadcnt 0x2
	v_lshrrev_b32_e32 v11, 16, v27
	s_wait_loadcnt 0x1
	v_lshrrev_b32_e32 v12, 16, v0
	v_fma_f16 v8, v77, v8, -v9
	v_mul_f16_e32 v9, v37, v27
	s_wait_loadcnt 0x0
	v_lshrrev_b32_e32 v14, 16, v1
	v_mul_f16_e32 v13, v37, v11
	v_mul_f16_e32 v15, v36, v12
	;; [unrolled: 1-line block ×3, first 2 shown]
	v_fma_f16 v9, v75, v11, -v9
	v_mul_f16_e32 v11, v36, v0
	v_mul_f16_e32 v17, v35, v14
	v_fmac_f16_e32 v10, v79, v25
	v_fmac_f16_e32 v5, v77, v26
	;; [unrolled: 1-line block ×3, first 2 shown]
	v_fma_f16 v11, v74, v12, -v11
	v_fmac_f16_e32 v13, v75, v27
	v_fma_f16 v0, v73, v14, -v16
	v_fmac_f16_e32 v17, v73, v1
	v_pack_b32_f16 v1, v10, v6
	v_pack_b32_f16 v5, v5, v8
	;; [unrolled: 1-line block ×5, first 2 shown]
	ds_store_2addr_b32 v56, v3, v2 offset0:160 offset1:212
	ds_store_2addr_b32 v68, v7, v1 offset0:120 offset1:172
	;; [unrolled: 1-line block ×3, first 2 shown]
	ds_store_b32 v72, v8 offset:2496
	ds_store_2addr_b32 v40, v6, v0 offset0:96 offset1:148
	global_wb scope:SCOPE_SE
	s_wait_storecnt_dscnt 0x0
	s_wait_kmcnt 0x0
	s_barrier_signal -1
	s_barrier_wait -1
	global_inv scope:SCOPE_SE
	ds_load_2addr_b32 v[0:1], v72 offset1:52
	ds_load_2addr_b32 v[2:3], v65 offset0:112 offset1:164
	ds_load_2addr_b32 v[4:5], v60 offset0:88 offset1:140
	;; [unrolled: 1-line block ×12, first 2 shown]
	v_add_nc_u32_e32 v26, 0x800, v172
	v_add_nc_u32_e32 v27, 0x1000, v172
	global_wb scope:SCOPE_SE
	s_wait_dscnt 0x0
	s_barrier_signal -1
	s_barrier_wait -1
	global_inv scope:SCOPE_SE
	v_lshrrev_b32_e32 v37, 16, v8
	v_lshrrev_b32_e32 v39, 16, v10
	;; [unrolled: 1-line block ×26, first 2 shown]
	v_sub_f16_e32 v3, v0, v3
	v_sub_f16_e32 v25, v2, v25
	v_sub_f16_e32 v31, v30, v31
	v_sub_f16_e32 v4, v1, v4
	v_sub_f16_e32 v33, v32, v33
	v_sub_f16_e32 v5, v6, v5
	v_sub_f16_e32 v8, v7, v8
	v_sub_f16_e32 v35, v34, v35
	v_sub_f16_e32 v37, v36, v37
	v_sub_f16_e32 v9, v10, v9
	v_sub_f16_e32 v12, v11, v12
	v_sub_f16_e32 v41, v39, v41
	v_sub_f16_e32 v43, v42, v43
	v_sub_f16_e32 v13, v14, v13
	v_sub_f16_e32 v16, v15, v16
	v_sub_f16_e32 v17, v18, v17
	v_sub_f16_e32 v20, v19, v20
	v_sub_f16_e32 v21, v22, v21
	v_sub_f16_e32 v24, v23, v24
	v_sub_f16_e32 v45, v44, v45
	v_sub_f16_e32 v47, v46, v47
	v_sub_f16_e32 v50, v49, v50
	v_sub_f16_e32 v52, v51, v52
	v_sub_f16_e32 v54, v53, v54
	v_sub_f16_e32 v58, v55, v58
	v_sub_f16_e32 v61, v59, v61
	v_fma_f16 v0, v0, 2.0, -v3
	v_fma_f16 v128, v2, 2.0, -v25
	;; [unrolled: 1-line block ×26, first 2 shown]
	v_pack_b32_f16 v1, v3, v31
	v_pack_b32_f16 v0, v0, v2
	;; [unrolled: 1-line block ×26, first 2 shown]
	ds_store_b64 v137, v[0:1]
	ds_store_b64 v136, v[2:3]
	ds_store_2addr_b64 v172, v[4:5], v[6:7] offset0:104 offset1:156
	ds_store_2addr_b64 v28, v[8:9], v[10:11] offset0:80 offset1:132
	;; [unrolled: 1-line block ×5, first 2 shown]
	ds_store_b64 v172, v[24:25] offset:4992
	global_wb scope:SCOPE_SE
	s_wait_dscnt 0x0
	s_barrier_signal -1
	s_barrier_wait -1
	global_inv scope:SCOPE_SE
	s_clause 0x2
	global_load_b128 v[24:27], v29, s[10:11]
	global_load_b128 v[20:23], v29, s[10:11] offset:16
	global_load_b128 v[16:19], v29, s[10:11] offset:32
	ds_load_2addr_b32 v[36:37], v72 offset0:104 offset1:156
	ds_load_2addr_b32 v[34:35], v64 offset0:80 offset1:132
	;; [unrolled: 1-line block ×12, first 2 shown]
	ds_load_2addr_b32 v[0:1], v72 offset1:52
	global_wb scope:SCOPE_SE
	s_wait_loadcnt_dscnt 0x0
	s_barrier_signal -1
	s_barrier_wait -1
	global_inv scope:SCOPE_SE
	v_lshrrev_b32_e32 v51, 16, v36
	v_lshrrev_b32_e32 v52, 16, v34
	;; [unrolled: 1-line block ×34, first 2 shown]
	v_mul_f16_e64 v61, v51, v173
	v_mul_f16_e64 v146, v36, v173
	;; [unrolled: 1-line block ×5, first 2 shown]
	v_lshrrev_b32_e32 v168, 16, v27
	v_lshrrev_b32_e32 v167, 16, v20
	;; [unrolled: 1-line block ×4, first 2 shown]
	v_mul_f16_e64 v71, v52, v170
	v_mul_f16_e64 v147, v34, v170
	;; [unrolled: 1-line block ×12, first 2 shown]
	v_fma_f16 v36, v36, v24, -v61
	v_fmac_f16_e64 v146, v51, v24
	v_fmac_f16_e64 v149, v53, v26
	;; [unrolled: 1-line block ×3, first 2 shown]
	v_fma_f16 v53, v2, v19, -v184
	v_mul_f16_e64 v150, v54, v168
	v_mul_f16_e64 v151, v30, v168
	;; [unrolled: 1-line block ×20, first 2 shown]
	v_fma_f16 v34, v34, v25, -v71
	v_fma_f16 v71, v35, v25, -v178
	v_fmac_f16_e64 v147, v52, v25
	v_fmac_f16_e64 v174, v127, v16
	;; [unrolled: 1-line block ×4, first 2 shown]
	v_fma_f16 v52, v4, v18, -v182
	v_fma_f16 v2, v15, v21, -v186
	;; [unrolled: 1-line block ×5, first 2 shown]
	v_sub_f16_e64 v3, v146, v185
	v_sub_f16_e32 v5, v36, v53
	v_add_f16_e32 v7, v36, v53
	v_add_f16_e32 v15, v0, v36
	v_add_f16_e64 v36, v50, v146
	v_mul_f16_e64 v153, v28, v167
	v_mul_f16_e64 v155, v14, v164
	;; [unrolled: 1-line block ×9, first 2 shown]
	v_fma_f16 v61, v37, v24, -v175
	v_fma_f16 v37, v32, v26, -v148
	;; [unrolled: 1-line block ×7, first 2 shown]
	v_fmac_f16_e64 v151, v54, v27
	v_fma_f16 v14, v14, v21, -v154
	v_fma_f16 v29, v8, v16, -v171
	;; [unrolled: 1-line block ×5, first 2 shown]
	v_fmac_f16_e64 v43, v141, v23
	v_fma_f16 v8, v9, v16, -v189
	v_fmac_f16_e64 v45, v142, v16
	v_fmac_f16_e64 v47, v143, v17
	;; [unrolled: 1-line block ×4, first 2 shown]
	v_add_f16_e64 v9, v146, v185
	v_sub_f16_e64 v11, v147, v183
	v_add_f16_e32 v13, v34, v52
	v_sub_f16_e32 v54, v34, v52
	v_mul_f16_e64 v141, 0xb770, v3
	v_mul_f16_e64 v142, 0xb770, v5
	;; [unrolled: 1-line block ×10, first 2 shown]
	v_mul_f16_e32 v3, 0xb3a8, v3
	v_mul_f16_e32 v5, 0xb3a8, v5
	v_add_f16_e32 v15, v15, v34
	v_add_f16_e64 v34, v36, v147
	v_mul_f16_e64 v158, v12, v163
	v_mul_f16_e64 v166, v10, v162
	v_fma_f16 v12, v12, v22, -v157
	v_fma_f16 v10, v10, v23, -v165
	v_mul_f16_e64 v157, 0xba95, v11
	v_mul_f16_e64 v165, 0xbb7b, v11
	;; [unrolled: 1-line block ×5, first 2 shown]
	v_mul_f16_e32 v11, 0x3770, v11
	v_fma_f16 v207, v7, 0x3b15, -v141
	v_fma_f16 v208, 0x3b15, v9, v142
	v_fmac_f16_e64 v141, 0x3b15, v7
	v_fma_f16 v142, v9, 0x3b15, -v142
	v_fma_f16 v209, v7, 0x388b, -v143
	v_fma_f16 v210, 0x388b, v9, v144
	v_fmac_f16_e64 v143, 0x388b, v7
	v_fma_f16 v144, v9, 0x388b, -v144
	v_fma_f16 v211, v7, 0x2fb7, -v145
	v_fmac_f16_e64 v145, 0x2fb7, v7
	v_fma_f16 v212, v7, 0xb5ac, -v148
	v_fmac_f16_e64 v148, 0xb5ac, v7
	;; [unrolled: 2-line block ×3, first 2 shown]
	v_fma_f16 v214, v7, 0xbbc4, -v3
	v_fmac_f16_e32 v3, 0xbbc4, v7
	v_fma_f16 v7, 0x2fb7, v9, v146
	v_fma_f16 v146, v9, 0x2fb7, -v146
	v_fma_f16 v215, 0xb5ac, v9, v150
	v_fma_f16 v150, v9, 0xb5ac, -v150
	;; [unrolled: 2-line block ×4, first 2 shown]
	v_add_f16_e32 v15, v15, v37
	v_add_f16_e64 v34, v34, v149
	v_fmac_f16_e64 v153, v55, v20
	v_fmac_f16_e64 v67, v132, v24
	;; [unrolled: 1-line block ×4, first 2 shown]
	v_sub_f16_e64 v131, v151, v174
	v_add_f16_e64 v132, v33, v29
	v_sub_f16_e64 v133, v33, v29
	v_add_f16_e64 v134, v151, v174
	v_fma_f16 v222, v13, 0x3b15, -v11
	v_fmac_f16_e32 v11, 0x3b15, v13
	v_add_f16_e32 v15, v15, v33
	v_add_f16_e64 v33, v34, v151
	v_add_f16_e64 v34, v50, v208
	;; [unrolled: 1-line block ×5, first 2 shown]
	v_add_f16_e32 v7, v50, v7
	v_add_f16_e64 v146, v50, v146
	v_add_f16_e64 v208, v50, v215
	;; [unrolled: 1-line block ×6, first 2 shown]
	v_add_f16_e32 v5, v50, v5
	v_add_f16_e64 v50, v0, v207
	v_add_f16_e64 v141, v0, v141
	;; [unrolled: 1-line block ×11, first 2 shown]
	v_add_f16_e32 v0, v0, v3
	v_fmac_f16_e64 v155, v58, v21
	v_fmac_f16_e64 v158, v59, v22
	;; [unrolled: 1-line block ×3, first 2 shown]
	v_add_f16_e64 v55, v147, v183
	v_add_f16_e32 v0, v11, v0
	v_add_f16_e32 v11, v15, v31
	v_add_f16_e64 v15, v33, v153
	v_sub_f16_e64 v58, v149, v177
	v_mul_f16_e32 v36, 0xba95, v54
	v_fmac_f16_e64 v44, v135, v27
	v_add_f16_e32 v11, v11, v14
	v_add_f16_e64 v15, v15, v155
	v_fmac_f16_e64 v42, v138, v20
	v_add_f16_e32 v59, v37, v51
	v_sub_f16_e32 v62, v37, v51
	v_add_f16_e32 v11, v11, v12
	v_add_f16_e64 v15, v15, v158
	v_add_f16_e64 v135, v31, v10
	v_sub_f16_e64 v138, v31, v10
	v_mul_f16_e64 v147, 0xbb7b, v54
	v_mul_f16_e64 v178, 0xb3a8, v54
	;; [unrolled: 1-line block ×4, first 2 shown]
	v_mul_f16_e32 v54, 0x3770, v54
	v_mul_f16_e64 v181, 0xbbf1, v58
	v_mul_f16_e64 v182, 0xb3a8, v58
	;; [unrolled: 1-line block ×5, first 2 shown]
	v_mul_f16_e32 v58, 0xb94e, v58
	v_fma_f16 v9, v13, 0x388b, -v157
	v_fmac_f16_e64 v157, 0x388b, v13
	v_fma_f16 v218, v13, 0xb5ac, -v165
	v_fmac_f16_e64 v165, 0xb5ac, v13
	;; [unrolled: 2-line block ×5, first 2 shown]
	v_fmamk_f16 v13, v55, 0x388b, v36
	v_add_f16_e32 v10, v11, v10
	v_add_f16_e64 v11, v15, v166
	v_fmac_f16_e64 v41, v140, v22
	v_add_f16_e64 v130, v149, v177
	v_sub_f16_e64 v140, v153, v166
	v_mul_f16_e64 v188, 0xbbf1, v62
	v_mul_f16_e64 v189, 0xb3a8, v62
	;; [unrolled: 1-line block ×5, first 2 shown]
	v_mul_f16_e32 v62, 0xb94e, v62
	v_mul_f16_e64 v193, 0xbb7b, v131
	v_mul_f16_e64 v194, 0x394e, v131
	v_mul_f16_e64 v195, 0x3770, v131
	v_mul_f16_e64 v196, 0xbbf1, v131
	v_mul_f16_e64 v197, 0x33a8, v131
	v_mul_f16_e64 v131, 0x3a95, v131
	v_fma_f16 v36, v55, 0x388b, -v36
	v_fma_f16 v223, 0xb5ac, v55, v147
	v_fma_f16 v147, v55, 0xb5ac, -v147
	v_fma_f16 v224, 0xbbc4, v55, v178
	;; [unrolled: 2-line block ×5, first 2 shown]
	v_fma_f16 v54, v55, 0x3b15, -v54
	v_fma_f16 v55, v59, 0x2fb7, -v181
	v_fmac_f16_e64 v181, 0x2fb7, v59
	v_fma_f16 v232, v59, 0xb9fd, -v58
	v_fmac_f16_e32 v58, 0xb9fd, v59
	v_add_f16_e32 v3, v9, v50
	v_add_f16_e32 v9, v13, v34
	v_add_f16_e64 v13, v157, v141
	v_add_f16_e32 v10, v10, v29
	v_add_f16_e64 v11, v11, v174
	v_mul_f16_e64 v198, 0xbb7b, v133
	v_mul_f16_e64 v199, 0x394e, v133
	;; [unrolled: 1-line block ×7, first 2 shown]
	v_fma_f16 v228, v59, 0xbbc4, -v182
	v_fmac_f16_e64 v182, 0xbbc4, v59
	v_fma_f16 v229, v59, 0xb5ac, -v184
	v_fmac_f16_e64 v184, 0xb5ac, v59
	;; [unrolled: 2-line block ×4, first 2 shown]
	v_fma_f16 v37, 0x2fb7, v130, v188
	v_fma_f16 v59, v130, 0x2fb7, -v188
	v_fma_f16 v149, 0xbbc4, v130, v189
	v_fma_f16 v188, v130, 0xbbc4, -v189
	;; [unrolled: 2-line block ×6, first 2 shown]
	v_fma_f16 v130, v132, 0xb5ac, -v193
	v_fmac_f16_e64 v193, 0xb5ac, v132
	v_fma_f16 v240, v132, 0x388b, -v131
	v_fmac_f16_e64 v131, 0x388b, v132
	v_add_f16_e64 v34, v36, v142
	v_add_f16_e64 v50, v223, v151
	;; [unrolled: 1-line block ×3, first 2 shown]
	v_add_f16_e32 v5, v54, v5
	v_add_f16_e32 v3, v55, v3
	v_add_f16_e64 v13, v181, v13
	v_add_f16_e32 v0, v58, v0
	v_add_f16_e32 v10, v10, v51
	v_add_f16_e64 v11, v11, v177
	v_fmac_f16_e64 v39, v139, v21
	v_add_f16_e64 v139, v153, v166
	v_mul_f16_e64 v206, 0x3bf1, v138
	v_fma_f16 v236, v132, 0xb9fd, -v194
	v_fmac_f16_e64 v194, 0xb9fd, v132
	v_fma_f16 v237, v132, 0x3b15, -v195
	v_fmac_f16_e64 v195, 0x3b15, v132
	;; [unrolled: 2-line block ×4, first 2 shown]
	v_fma_f16 v132, 0xb5ac, v134, v198
	v_fma_f16 v198, v134, 0xb5ac, -v198
	v_fma_f16 v241, 0xb9fd, v134, v199
	v_fma_f16 v199, v134, 0xb9fd, -v199
	;; [unrolled: 2-line block ×6, first 2 shown]
	v_fma_f16 v134, v135, 0xb9fd, -v203
	v_fmac_f16_e64 v203, 0xb9fd, v135
	v_add_f16_e64 v141, v165, v143
	v_add_f16_e64 v143, v219, v209
	;; [unrolled: 1-line block ×3, first 2 shown]
	v_add_f16_e32 v9, v37, v9
	v_add_f16_e32 v31, v59, v34
	v_add_f16_e64 v34, v149, v50
	v_add_f16_e64 v37, v188, v142
	v_add_f16_e32 v5, v62, v5
	v_add_f16_e64 v3, v130, v3
	v_add_f16_e64 v13, v193, v13
	;; [unrolled: 1-line block ×3, first 2 shown]
	v_add_f16_e32 v0, v10, v52
	v_add_f16_e64 v10, v11, v183
	v_add_f16_e64 v144, v171, v145
	;; [unrolled: 1-line block ×10, first 2 shown]
	v_add_f16_e32 v0, v0, v53
	v_add_f16_e64 v3, v10, v185
	v_add_f16_e64 v10, v203, v13
	v_fma_f16 v13, 0x2fb7, v139, v206
	v_mul_f16_e64 v52, 0xba95, v140
	v_fma_f16 v53, v139, 0x2fb7, -v206
	v_mul_f16_e64 v133, 0xba95, v138
	v_add_f16_e64 v36, v218, v207
	v_add_f16_e64 v147, v225, v208
	;; [unrolled: 1-line block ×9, first 2 shown]
	v_add_f16_e32 v34, v13, v34
	v_fma_f16 v13, v135, 0x388b, -v52
	v_add_f16_e32 v37, v53, v37
	v_fma_f16 v53, 0x388b, v139, v133
	v_mul_f16_e64 v134, 0x33a8, v140
	v_add_f16_e64 v151, v221, v212
	v_add_f16_e64 v157, v226, v210
	;; [unrolled: 1-line block ×10, first 2 shown]
	v_add_f16_e32 v50, v13, v50
	v_fmac_f16_e64 v52, 0x388b, v135
	v_fma_f16 v13, v139, 0x388b, -v133
	v_add_f16_e32 v53, v53, v7
	v_fma_f16 v7, v135, 0xbbc4, -v134
	v_mul_f16_e64 v133, 0x33a8, v138
	v_add_f16_e64 v152, v176, v152
	v_add_f16_e64 v154, v180, v154
	;; [unrolled: 1-line block ×8, first 2 shown]
	v_add_f16_e32 v52, v52, v54
	v_add_f16_e32 v54, v13, v55
	v_mul_f16_e64 v13, 0x3770, v140
	v_add_f16_e32 v55, v7, v58
	v_fma_f16 v7, 0xbbc4, v139, v133
	v_fmac_f16_e64 v134, 0xbbc4, v135
	v_mul_f16_e64 v143, 0x3770, v138
	v_add_f16_e64 v171, v227, v215
	v_add_f16_e64 v146, v187, v152
	;; [unrolled: 1-line block ×6, first 2 shown]
	v_fma_f16 v58, v139, 0xbbc4, -v133
	v_fma_f16 v133, v135, 0x3b15, -v13
	v_add_f16_e32 v59, v7, v59
	v_add_f16_e64 v134, v134, v15
	v_fma_f16 v7, 0x3b15, v139, v143
	v_mul_f16_e64 v15, 0xbb7b, v140
	v_mul_f16_e64 v204, 0xb94e, v138
	;; [unrolled: 1-line block ×3, first 2 shown]
	v_add_f16_e64 v149, v235, v171
	v_add_f16_e64 v9, v132, v9
	;; [unrolled: 1-line block ×5, first 2 shown]
	v_add_f16_e32 v58, v58, v62
	v_add_f16_e64 v62, v133, v130
	v_mul_f16_e64 v130, 0xbb7b, v138
	v_fmac_f16_e64 v13, 0x3b15, v135
	v_fma_f16 v133, v139, 0x3b15, -v143
	v_add_f16_e64 v138, v7, v29
	v_fma_f16 v7, v135, 0xb5ac, -v15
	v_sub_f16_e64 v140, v155, v158
	v_sub_f16_e64 v144, v14, v12
	v_fma_f16 v246, 0xb9fd, v139, v204
	v_add_f16_e64 v142, v245, v149
	v_fma_f16 v29, 0xb5ac, v139, v130
	v_add_f16_e64 v132, v13, v132
	v_add_f16_e64 v133, v133, v141
	v_add_f16_e64 v141, v7, v51
	v_add_f16_e64 v143, v14, v12
	v_mul_f16_e64 v7, 0xb3a8, v140
	v_fma_f16 v12, v139, 0xb5ac, -v130
	v_add_f16_e64 v130, v155, v158
	v_mul_f16_e64 v13, 0xb3a8, v144
	v_fma_f16 v204, v139, 0xb9fd, -v204
	v_fma_f16 v247, v135, 0x2fb7, -v205
	v_add_f16_e64 v31, v198, v31
	v_add_f16_e64 v33, v236, v33
	;; [unrolled: 1-line block ×3, first 2 shown]
	v_fmac_f16_e64 v205, 0x2fb7, v135
	v_add_f16_e64 v142, v29, v142
	v_fmac_f16_e64 v15, 0xb5ac, v135
	v_fma_f16 v14, v143, 0xbbc4, -v7
	v_add_f16_e64 v135, v12, v5
	v_mul_f16_e64 v29, 0x3770, v140
	v_fma_f16 v5, 0xbbc4, v130, v13
	v_add_f16_e64 v31, v204, v31
	v_add_f16_e64 v33, v247, v33
	v_add_f16_e32 v11, v14, v11
	v_fmac_f16_e64 v7, 0xbbc4, v143
	v_fma_f16 v12, v130, 0xbbc4, -v13
	v_fma_f16 v14, v143, 0x3b15, -v29
	v_add_f16_e32 v13, v5, v9
	v_mul_f16_e64 v9, 0x3770, v144
	v_add_f16_e64 v36, v194, v36
	v_add_f16_e32 v5, v7, v10
	v_add_f16_e32 v7, v12, v31
	;; [unrolled: 1-line block ×3, first 2 shown]
	v_fma_f16 v10, 0x3b15, v130, v9
	v_mul_f16_e64 v33, 0xb94e, v144
	v_add_f16_e64 v36, v205, v36
	v_add_f16_e64 v131, v15, v131
	v_mul_f16_e64 v14, 0xb94e, v140
	v_fmac_f16_e64 v29, 0x3b15, v143
	v_fma_f16 v31, v130, 0x3b15, -v9
	v_add_f16_e32 v15, v10, v34
	v_fma_f16 v34, 0xb9fd, v130, v33
	v_fma_f16 v51, v143, 0xb9fd, -v14
	v_add_f16_e32 v9, v29, v36
	v_add_f16_e32 v10, v31, v37
	v_fmac_f16_e64 v14, 0xb9fd, v143
	v_add_f16_e32 v31, v34, v53
	v_mul_f16_e64 v34, 0x3a95, v140
	v_mul_f16_e64 v36, 0x3a95, v144
	v_add_f16_e32 v37, v1, v61
	v_add_f16_e32 v29, v51, v50
	;; [unrolled: 1-line block ×3, first 2 shown]
	v_fma_f16 v50, v143, 0x388b, -v34
	v_fma_f16 v51, 0x388b, v130, v36
	v_add_f16_e32 v52, v49, v67
	v_add_f16_e32 v53, v37, v71
	v_fma_f16 v33, v130, 0xb9fd, -v33
	v_add_f16_e32 v37, v50, v55
	v_add_f16_e32 v50, v51, v59
	v_add_f16_e32 v51, v52, v63
	v_add_f16_e32 v52, v53, v32
	v_add_f16_e32 v33, v33, v54
	v_fma_f16 v36, v130, 0x388b, -v36
	v_mul_f16_e64 v54, 0xbb7b, v140
	v_add_f16_e32 v51, v51, v46
	v_add_f16_e32 v52, v52, v30
	v_mul_f16_e64 v55, 0xbb7b, v144
	v_add_f16_e32 v36, v36, v58
	v_fma_f16 v53, v143, 0xb5ac, -v54
	v_add_f16_e32 v58, v51, v44
	v_add_f16_e32 v52, v52, v28
	v_fma_f16 v59, 0xb5ac, v130, v55
	v_fmac_f16_e64 v54, 0xb5ac, v143
	v_add_f16_e32 v51, v53, v62
	v_add_f16_e32 v58, v58, v42
	;; [unrolled: 1-line block ×3, first 2 shown]
	v_fmac_f16_e64 v34, 0x388b, v143
	v_add_f16_e64 v53, v59, v138
	v_add_f16_e64 v52, v54, v132
	v_mul_f16_e64 v59, 0x3bf1, v140
	v_add_f16_e32 v54, v58, v39
	v_add_f16_e32 v58, v62, v4
	v_add_f16_e64 v34, v34, v134
	v_fma_f16 v55, v130, 0xb5ac, -v55
	v_fma_f16 v132, v143, 0x2fb7, -v59
	v_add_f16_e64 v134, v54, v41
	v_add_f16_e32 v58, v58, v6
	v_mul_f16_e64 v62, 0x3bf1, v144
	v_add_f16_e64 v54, v55, v133
	v_add_f16_e64 v55, v132, v141
	;; [unrolled: 1-line block ×4, first 2 shown]
	v_fmac_f16_e64 v59, 0x2fb7, v143
	v_fma_f16 v133, 0x2fb7, v130, v62
	v_fma_f16 v62, v130, 0x2fb7, -v62
	v_add_f16_e64 v130, v132, v45
	v_add_f16_e64 v132, v134, v35
	;; [unrolled: 1-line block ×3, first 2 shown]
	v_sub_f16_e64 v131, v67, v128
	v_add_f16_e64 v58, v133, v142
	v_add_f16_e64 v130, v130, v47
	;; [unrolled: 1-line block ×4, first 2 shown]
	v_mul_f16_e64 v134, 0xb770, v131
	v_add_f16_e64 v62, v62, v135
	v_sub_f16_e64 v135, v61, v129
	v_add_f16_e64 v130, v130, v70
	v_add_f16_e64 v61, v132, v129
	v_fma_f16 v132, v133, 0x3b15, -v134
	v_fmac_f16_e64 v134, 0x3b15, v133
	v_mul_f16_e64 v139, 0xba95, v131
	v_mul_f16_e64 v140, 0xbbf1, v131
	;; [unrolled: 1-line block ×5, first 2 shown]
	v_add_f16_e64 v129, v67, v128
	v_mul_f16_e64 v138, 0xb770, v135
	v_add_f16_e64 v67, v130, v128
	v_add_f16_e64 v128, v1, v132
	;; [unrolled: 1-line block ×3, first 2 shown]
	v_fma_f16 v134, v133, 0x388b, -v139
	v_mul_f16_e64 v141, 0xba95, v135
	v_fmac_f16_e64 v139, 0x388b, v133
	v_fma_f16 v142, v133, 0x2fb7, -v140
	v_fmac_f16_e64 v140, 0x2fb7, v133
	v_fma_f16 v146, v133, 0xb5ac, -v144
	;; [unrolled: 2-line block ×4, first 2 shown]
	v_fmac_f16_e64 v131, 0xbbc4, v133
	v_fma_f16 v130, 0x3b15, v129, v138
	v_fma_f16 v138, v129, 0x3b15, -v138
	v_add_f16_e64 v134, v1, v134
	v_fma_f16 v143, 0x388b, v129, v141
	v_add_f16_e64 v139, v1, v139
	v_add_f16_e64 v142, v1, v142
	v_mul_f16_e64 v133, 0xbbf1, v135
	v_add_f16_e64 v140, v1, v140
	v_add_f16_e64 v146, v1, v146
	;; [unrolled: 1-line block ×7, first 2 shown]
	v_mul_f16_e64 v131, 0xbb7b, v135
	v_mul_f16_e64 v150, 0xb94e, v135
	;; [unrolled: 1-line block ×3, first 2 shown]
	v_fma_f16 v141, v129, 0x388b, -v141
	v_fma_f16 v149, 0x2fb7, v129, v133
	v_fma_f16 v133, v129, 0x2fb7, -v133
	v_fma_f16 v151, 0xb5ac, v129, v131
	;; [unrolled: 2-line block ×4, first 2 shown]
	v_fma_f16 v129, v129, 0xbbc4, -v135
	v_add_f16_e64 v135, v49, v138
	v_add_f16_e64 v138, v49, v143
	v_sub_f16_e64 v143, v63, v70
	v_add_f16_e64 v154, v71, v127
	v_sub_f16_e32 v71, v71, v127
	v_add_f16_e64 v127, v49, v131
	v_add_f16_e64 v131, v49, v152
	v_mul_f16_e64 v155, 0xba95, v143
	v_add_f16_e32 v63, v63, v70
	v_mul_f16_e64 v152, 0xba95, v71
	v_add_f16_e64 v130, v49, v130
	v_add_f16_e64 v141, v49, v141
	v_fma_f16 v70, v154, 0x388b, -v155
	v_add_f16_e64 v149, v49, v149
	v_add_f16_e64 v133, v49, v133
	;; [unrolled: 1-line block ×7, first 2 shown]
	v_fma_f16 v128, 0x388b, v63, v152
	v_mul_f16_e64 v129, 0xbb7b, v143
	v_fmac_f16_e64 v155, 0x388b, v154
	v_fma_f16 v152, v63, 0x388b, -v152
	v_mul_f16_e64 v157, 0xbb7b, v71
	v_add_f16_e64 v128, v128, v130
	v_fma_f16 v130, v154, 0xb5ac, -v129
	v_add_f16_e64 v132, v155, v132
	v_add_f16_e64 v135, v152, v135
	v_fma_f16 v152, 0xb5ac, v63, v157
	v_mul_f16_e64 v155, 0xb3a8, v143
	v_add_f16_e64 v130, v130, v134
	v_fma_f16 v134, v63, 0xb5ac, -v157
	v_mul_f16_e64 v157, 0xb3a8, v71
	v_add_f16_e64 v138, v152, v138
	v_fma_f16 v152, v154, 0xbbc4, -v155
	v_fmac_f16_e64 v129, 0xb5ac, v154
	v_add_f16_e64 v134, v134, v141
	v_mul_f16_e64 v158, 0x394e, v71
	v_fmac_f16_e64 v155, 0xbbc4, v154
	v_add_f16_e64 v141, v152, v142
	v_fma_f16 v142, 0xbbc4, v63, v157
	v_fma_f16 v152, v63, 0xbbc4, -v157
	v_add_f16_e64 v129, v129, v139
	v_mul_f16_e64 v139, 0x394e, v143
	v_add_f16_e64 v140, v155, v140
	v_add_f16_e64 v142, v142, v149
	;; [unrolled: 1-line block ×3, first 2 shown]
	v_fma_f16 v149, 0xb9fd, v63, v158
	v_mul_f16_e64 v152, 0x3bf1, v143
	v_fma_f16 v157, v154, 0xb9fd, -v139
	v_fmac_f16_e64 v139, 0xb9fd, v154
	v_mul_f16_e64 v155, 0x3bf1, v71
	v_add_f16_e64 v149, v149, v151
	v_fma_f16 v151, v154, 0x2fb7, -v152
	v_mul_f16_e64 v143, 0x3770, v143
	v_fmac_f16_e64 v152, 0x2fb7, v154
	v_add_f16_e64 v139, v139, v144
	v_fma_f16 v144, 0x2fb7, v63, v155
	v_add_f16_e64 v147, v151, v147
	v_fma_f16 v151, v154, 0x3b15, -v143
	v_add_f16_e64 v145, v152, v145
	v_sub_f16_e64 v152, v46, v47
	v_add_f16_e64 v131, v144, v131
	v_fma_f16 v144, v63, 0x2fb7, -v155
	v_mul_f16_e32 v71, 0x3770, v71
	v_add_f16_e64 v148, v151, v148
	v_add_f16_e64 v151, v32, v35
	v_mul_f16_e64 v155, 0xbbf1, v152
	v_sub_f16_e32 v32, v32, v35
	v_add_f16_e64 v144, v144, v150
	v_fma_f16 v150, 0x3b15, v63, v71
	v_fmac_f16_e64 v143, 0x3b15, v154
	v_fma_f16 v35, v63, 0x3b15, -v71
	v_fma_f16 v71, v151, 0x2fb7, -v155
	v_add_f16_e32 v46, v46, v47
	v_mul_f16_e32 v47, 0xbbf1, v32
	v_add_f16_e64 v1, v143, v1
	v_add_f16_e32 v35, v35, v49
	v_add_f16_e32 v49, v71, v70
	v_fmac_f16_e64 v155, 0x2fb7, v151
	v_fmamk_f16 v71, v46, 0x2fb7, v47
	v_mul_f16_e64 v143, 0xb3a8, v32
	v_mul_f16_e64 v70, 0xb3a8, v152
	v_fma_f16 v47, v46, 0x2fb7, -v47
	v_add_f16_e64 v146, v157, v146
	v_add_f16_e64 v71, v71, v128
	;; [unrolled: 1-line block ×3, first 2 shown]
	v_fma_f16 v132, 0xbbc4, v46, v143
	v_fma_f16 v157, v63, 0xb9fd, -v158
	v_add_f16_e64 v63, v150, v153
	v_fma_f16 v150, v151, 0xbbc4, -v70
	v_add_f16_e64 v47, v47, v135
	v_mul_f16_e64 v135, 0x3b7b, v152
	v_fmac_f16_e64 v70, 0xbbc4, v151
	v_fma_f16 v143, v46, 0xbbc4, -v143
	v_add_f16_e64 v132, v132, v138
	v_mul_f16_e64 v138, 0x3b7b, v32
	v_add_f16_e64 v130, v150, v130
	v_fma_f16 v150, v151, 0xb5ac, -v135
	v_add_f16_e64 v70, v70, v129
	v_add_f16_e64 v129, v143, v134
	v_mul_f16_e64 v134, 0x3770, v152
	v_fma_f16 v143, 0xb5ac, v46, v138
	v_fmac_f16_e64 v135, 0xb5ac, v151
	v_add_f16_e64 v141, v150, v141
	v_fma_f16 v138, v46, 0xb5ac, -v138
	v_fma_f16 v150, v151, 0x3b15, -v134
	v_add_f16_e64 v142, v143, v142
	v_mul_f16_e64 v143, 0x3770, v32
	v_add_f16_e64 v135, v135, v140
	v_mul_f16_e64 v140, 0xba95, v152
	v_add_f16_e64 v127, v157, v127
	v_add_f16_e64 v133, v138, v133
	;; [unrolled: 1-line block ×3, first 2 shown]
	v_fma_f16 v146, 0x3b15, v46, v143
	v_fmac_f16_e64 v134, 0x3b15, v151
	v_mul_f16_e64 v150, 0xba95, v32
	v_fma_f16 v143, v46, 0x3b15, -v143
	v_fma_f16 v153, v151, 0x388b, -v140
	v_fmac_f16_e64 v140, 0x388b, v151
	v_add_f16_e64 v134, v134, v139
	v_fma_f16 v139, 0x388b, v46, v150
	v_add_f16_e64 v127, v143, v127
	v_add_f16_e64 v143, v153, v147
	v_mul_f16_e64 v147, 0xb94e, v152
	v_add_f16_e64 v146, v146, v149
	v_add_f16_e64 v131, v139, v131
	v_fma_f16 v139, v46, 0x388b, -v150
	v_add_f16_e64 v140, v140, v145
	v_fma_f16 v149, v151, 0xb9fd, -v147
	v_sub_f16_e64 v145, v44, v45
	v_mul_f16_e32 v32, 0xb94e, v32
	v_add_f16_e64 v139, v139, v144
	v_add_f16_e32 v44, v44, v45
	v_add_f16_e64 v144, v149, v148
	v_add_f16_e64 v148, v30, v8
	v_mul_f16_e64 v149, 0xbb7b, v145
	v_sub_f16_e32 v8, v30, v8
	v_fma_f16 v150, 0xb9fd, v46, v32
	v_fma_f16 v30, v46, 0xb9fd, -v32
	v_fmac_f16_e64 v147, 0xb9fd, v151
	v_fma_f16 v32, v148, 0xb5ac, -v149
	v_mul_f16_e32 v45, 0xbb7b, v8
	v_fmac_f16_e64 v149, 0xb5ac, v148
	v_add_f16_e32 v30, v30, v35
	v_mul_f16_e64 v35, 0x394e, v145
	v_add_f16_e32 v32, v32, v49
	v_fmamk_f16 v46, v44, 0xb5ac, v45
	v_fma_f16 v45, v44, 0xb5ac, -v45
	v_mul_f16_e32 v49, 0x394e, v8
	v_add_f16_e64 v1, v147, v1
	v_fma_f16 v147, v148, 0xb9fd, -v35
	v_add_f16_e32 v46, v46, v71
	v_add_f16_e32 v45, v45, v47
	v_fmamk_f16 v47, v44, 0xb9fd, v49
	v_add_f16_e64 v71, v149, v128
	v_add_f16_e64 v128, v147, v130
	v_mul_f16_e64 v130, 0x3770, v145
	v_fmac_f16_e64 v35, 0xb9fd, v148
	v_fma_f16 v49, v44, 0xb9fd, -v49
	v_add_f16_e64 v47, v47, v132
	v_mul_f16_e64 v132, 0x3770, v8
	v_fma_f16 v147, v148, 0x3b15, -v130
	v_add_f16_e32 v35, v35, v70
	v_add_f16_e64 v49, v49, v129
	v_mul_f16_e64 v70, 0xbbf1, v145
	v_fma_f16 v129, 0x3b15, v44, v132
	v_fmac_f16_e64 v130, 0x3b15, v148
	v_add_f16_e64 v141, v147, v141
	v_fma_f16 v132, v44, 0x3b15, -v132
	v_fma_f16 v147, v148, 0x2fb7, -v70
	v_add_f16_e64 v129, v129, v142
	v_mul_f16_e64 v142, 0xbbf1, v8
	v_add_f16_e64 v130, v130, v135
	v_mul_f16_e64 v135, 0x33a8, v145
	v_add_f16_e64 v132, v132, v133
	v_add_f16_e64 v133, v147, v138
	v_fma_f16 v138, 0x2fb7, v44, v142
	v_fmac_f16_e64 v70, 0x2fb7, v148
	v_mul_f16_e64 v147, 0x33a8, v8
	v_fma_f16 v142, v44, 0x2fb7, -v142
	v_fma_f16 v149, v148, 0xbbc4, -v135
	v_fmac_f16_e64 v135, 0xbbc4, v148
	v_add_f16_e64 v70, v70, v134
	v_fma_f16 v134, 0xbbc4, v44, v147
	v_add_f16_e64 v127, v142, v127
	v_add_f16_e64 v142, v149, v143
	v_mul_f16_e64 v143, 0x3a95, v145
	v_add_f16_e64 v135, v135, v140
	v_add_f16_e64 v131, v134, v131
	v_fma_f16 v134, v44, 0xbbc4, -v147
	v_sub_f16_e64 v140, v42, v43
	v_fma_f16 v145, v148, 0x388b, -v143
	v_mul_f16_e32 v8, 0x3a95, v8
	v_add_f16_e64 v138, v138, v146
	v_add_f16_e64 v134, v134, v139
	v_add_f16_e32 v42, v42, v43
	v_add_f16_e64 v139, v145, v144
	v_add_f16_e64 v144, v28, v6
	v_mul_f16_e64 v145, 0xb94e, v140
	v_sub_f16_e32 v6, v28, v6
	v_fma_f16 v146, 0x388b, v44, v8
	v_fma_f16 v8, v44, 0x388b, -v8
	v_fmac_f16_e64 v143, 0x388b, v148
	v_fma_f16 v28, v144, 0xb9fd, -v145
	v_mul_f16_e32 v43, 0xb94e, v6
	v_mul_f16_e32 v44, 0x3bf1, v6
	v_add_f16_e32 v8, v8, v30
	v_mul_f16_e64 v30, 0x3bf1, v140
	v_add_f16_e32 v28, v28, v32
	v_fmamk_f16 v32, v42, 0xb9fd, v43
	v_fma_f16 v43, v42, 0xb9fd, -v43
	v_add_f16_e64 v1, v143, v1
	v_fmac_f16_e64 v145, 0xb9fd, v144
	v_fma_f16 v143, v144, 0x2fb7, -v30
	v_add_f16_e32 v32, v32, v46
	v_add_f16_e32 v43, v43, v45
	v_fmamk_f16 v45, v42, 0x2fb7, v44
	v_add_f16_e64 v46, v145, v71
	v_add_f16_e64 v71, v143, v128
	v_mul_f16_e64 v128, 0xba95, v140
	v_fmac_f16_e64 v30, 0x2fb7, v144
	v_fma_f16 v44, v42, 0x2fb7, -v44
	v_add_f16_e32 v45, v45, v47
	v_mul_f16_e32 v47, 0xba95, v6
	v_fma_f16 v143, v144, 0x388b, -v128
	v_add_f16_e32 v30, v30, v35
	v_add_f16_e32 v35, v44, v49
	v_mul_f16_e64 v44, 0x33a8, v140
	v_fmamk_f16 v49, v42, 0x388b, v47
	v_add_f16_e64 v141, v143, v141
	v_fmac_f16_e64 v128, 0x388b, v144
	v_fma_f16 v47, v42, 0x388b, -v47
	v_fma_f16 v143, v144, 0xbbc4, -v44
	v_add_f16_e64 v49, v49, v129
	v_mul_f16_e64 v129, 0x33a8, v6
	v_add_f16_e64 v128, v128, v130
	v_add_f16_e64 v47, v47, v132
	;; [unrolled: 1-line block ×3, first 2 shown]
	v_mul_f16_e64 v132, 0x3770, v140
	v_fma_f16 v133, 0xbbc4, v42, v129
	v_fmac_f16_e64 v44, 0xbbc4, v144
	v_mul_f16_e64 v143, 0x3770, v6
	v_fma_f16 v129, v42, 0xbbc4, -v129
	v_fma_f16 v145, v144, 0x3b15, -v132
	v_add_f16_e64 v133, v133, v138
	v_add_f16_e32 v44, v44, v70
	v_fma_f16 v70, 0x3b15, v42, v143
	v_mul_f16_e64 v138, 0xbb7b, v140
	v_fmac_f16_e64 v132, 0x3b15, v144
	v_mul_f16_e32 v6, 0xbb7b, v6
	v_add_f16_e64 v127, v129, v127
	v_add_f16_e64 v70, v70, v131
	v_fma_f16 v131, v42, 0x3b15, -v143
	v_fma_f16 v140, v144, 0xb5ac, -v138
	v_add_f16_e64 v132, v132, v135
	v_sub_f16_e64 v135, v39, v41
	v_add_f16_e64 v129, v145, v142
	v_add_f16_e64 v131, v131, v134
	v_add_f16_e64 v134, v140, v139
	v_add_f16_e64 v139, v2, v4
	v_mul_f16_e64 v140, 0xb3a8, v135
	v_sub_f16_e32 v2, v2, v4
	v_fma_f16 v142, 0xb5ac, v42, v6
	v_fma_f16 v4, v42, 0xb5ac, -v6
	v_add_f16_e32 v39, v39, v41
	v_fma_f16 v6, v139, 0xbbc4, -v140
	v_mul_f16_e32 v41, 0xb3a8, v2
	v_fmac_f16_e64 v138, 0xb5ac, v144
	v_add_f16_e32 v4, v4, v8
	v_mul_f16_e64 v8, 0x3770, v135
	v_add_f16_e32 v6, v6, v28
	v_fmamk_f16 v28, v39, 0xbbc4, v41
	v_fma_f16 v41, v39, 0xbbc4, -v41
	v_mul_f16_e32 v42, 0x3770, v2
	v_add_f16_e64 v1, v138, v1
	v_fmac_f16_e64 v140, 0xbbc4, v139
	v_fma_f16 v138, v139, 0x3b15, -v8
	v_add_f16_e32 v41, v41, v43
	v_fmamk_f16 v43, v39, 0x3b15, v42
	v_fma_f16 v42, v39, 0x3b15, -v42
	v_add_f16_e32 v28, v28, v32
	v_add_f16_e64 v32, v140, v46
	v_add_f16_e64 v46, v138, v71
	v_fmac_f16_e64 v8, 0x3b15, v139
	v_mul_f16_e64 v71, 0xb94e, v135
	v_add_f16_e32 v43, v43, v45
	v_mul_f16_e32 v45, 0xb94e, v2
	v_add_f16_e32 v35, v42, v35
	v_mul_f16_e64 v42, 0x3a95, v135
	v_add_f16_e32 v8, v8, v30
	v_fma_f16 v30, v139, 0xb9fd, -v71
	v_fma_f16 v138, 0xb9fd, v39, v45
	v_fmac_f16_e64 v71, 0xb9fd, v139
	v_fma_f16 v45, v39, 0xb9fd, -v45
	v_fma_f16 v140, v139, 0x388b, -v42
	v_add_f16_e64 v30, v30, v141
	v_fmac_f16_e64 v42, 0x388b, v139
	v_add_f16_e64 v71, v71, v128
	v_mul_f16_e64 v128, 0x3a95, v2
	v_add_f16_e32 v45, v45, v47
	v_add_f16_e64 v47, v140, v130
	v_mul_f16_e64 v130, 0xbb7b, v135
	v_add_f16_e64 v63, v150, v63
	v_fma_f16 v140, 0x388b, v39, v128
	v_fma_f16 v128, v39, 0x388b, -v128
	v_add_f16_e64 v49, v138, v49
	v_fma_f16 v141, v139, 0xb5ac, -v130
	v_mul_f16_e64 v138, 0xbb7b, v2
	v_add_f16_e32 v42, v42, v44
	v_add_f16_e64 v44, v128, v127
	v_add_f16_e64 v63, v146, v63
	;; [unrolled: 1-line block ×3, first 2 shown]
	v_lshrrev_b32_e32 v129, 1, v115
	v_fma_f16 v128, v39, 0xb5ac, -v138
	v_mul_f16_e32 v2, 0x3bf1, v2
	v_add_f16_e64 v63, v142, v63
	v_fma_f16 v142, 0xb5ac, v39, v138
	v_mul_u32_u24_e32 v129, 26, v129
	v_fmac_f16_e64 v130, 0xb5ac, v139
	v_mul_f16_e64 v135, 0x3bf1, v135
	v_add_f16_e64 v128, v128, v131
	v_fma_f16 v131, 0x2fb7, v39, v2
	v_fma_f16 v2, v39, 0x2fb7, -v2
	v_or_b32_e32 v39, v129, v38
	v_add_f16_e64 v132, v130, v132
	v_fma_f16 v130, v139, 0x2fb7, -v135
	v_fmac_f16_e64 v135, 0x2fb7, v139
	v_pack_b32_f16 v0, v0, v3
	v_lshlrev_b32_e32 v139, 2, v39
	v_pack_b32_f16 v3, v11, v13
	v_lshrrev_b32_e32 v11, 1, v48
	v_add_f16_e32 v2, v2, v4
	v_pack_b32_f16 v4, v37, v50
	v_pack_b32_f16 v13, v55, v58
	ds_store_2addr_b32 v139, v0, v3 offset1:2
	v_pack_b32_f16 v0, v12, v15
	v_pack_b32_f16 v3, v29, v31
	v_mul_u32_u24_e32 v11, 26, v11
	v_pack_b32_f16 v12, v51, v53
	v_pack_b32_f16 v15, v59, v62
	ds_store_2addr_b32 v139, v0, v3 offset0:4 offset1:6
	ds_store_2addr_b32 v139, v4, v12 offset0:8 offset1:10
	;; [unrolled: 1-line block ×3, first 2 shown]
	v_or_b32_e32 v0, v11, v38
	v_add_f16_e64 v133, v140, v133
	v_add_f16_e64 v70, v142, v70
	;; [unrolled: 1-line block ×5, first 2 shown]
	v_pack_b32_f16 v29, v52, v54
	v_pack_b32_f16 v31, v34, v36
	;; [unrolled: 1-line block ×4, first 2 shown]
	v_add_co_u32 v187, null, 0xffffffe6, v115
	v_pack_b32_f16 v5, v5, v7
	v_lshlrev_b32_e32 v130, 2, v0
	v_pack_b32_f16 v0, v61, v67
	v_pack_b32_f16 v6, v6, v28
	;; [unrolled: 1-line block ×4, first 2 shown]
	v_cndmask_b32_e32 v30, v187, v115, vcc_lo
	v_pack_b32_f16 v10, v47, v133
	v_pack_b32_f16 v11, v127, v70
	ds_store_2addr_b32 v139, v29, v31 offset0:16 offset1:18
	ds_store_2addr_b32 v139, v3, v4 offset0:20 offset1:22
	ds_store_b32 v139, v5 offset:96
	ds_store_2addr_b32 v130, v0, v6 offset1:2
	ds_store_2addr_b32 v130, v7, v9 offset0:4 offset1:6
	ds_store_2addr_b32 v130, v10, v11 offset0:8 offset1:10
	v_pack_b32_f16 v0, v129, v63
	v_pack_b32_f16 v1, v1, v2
	v_pack_b32_f16 v2, v132, v128
	v_pack_b32_f16 v3, v42, v44
	v_pack_b32_f16 v4, v71, v45
	v_pack_b32_f16 v5, v8, v35
	ds_store_2addr_b32 v130, v0, v1 offset0:12 offset1:14
	v_mul_i32_i24_e32 v1, 48, v30
	ds_store_2addr_b32 v130, v2, v3 offset0:16 offset1:18
	v_mul_hi_i32_i24_e32 v2, 48, v30
	ds_store_2addr_b32 v130, v4, v5 offset0:20 offset1:22
	v_pack_b32_f16 v0, v32, v41
	v_add_co_u32 v4, s2, s10, v1
	s_wait_alu 0xf1ff
	v_add_co_ci_u32_e64 v5, s2, s11, v2, s2
	ds_store_b32 v130, v0 offset:96
	global_wb scope:SCOPE_SE
	s_wait_dscnt 0x0
	s_barrier_signal -1
	s_barrier_wait -1
	global_inv scope:SCOPE_SE
	s_clause 0x2
	global_load_b128 v[8:11], v[4:5], off offset:96
	global_load_b128 v[0:3], v[4:5], off offset:128
	;; [unrolled: 1-line block ×3, first 2 shown]
	ds_load_2addr_b32 v[36:37], v72 offset1:52
	ds_load_2addr_b32 v[46:47], v72 offset0:104 offset1:156
	ds_load_2addr_b32 v[44:45], v64 offset0:80 offset1:132
	;; [unrolled: 1-line block ×5, first 2 shown]
	v_and_b32_e32 v12, 0xff, v48
	v_cmp_lt_u16_e64 s2, 25, v66
	s_delay_alu instid0(VALU_DEP_2) | instskip(SKIP_1) | instid1(VALU_DEP_2)
	v_mul_lo_u16 v12, 0x4f, v12
	s_wait_alu 0xf1ff
	v_cndmask_b32_e64 v66, 0, 0x152, s2
	s_delay_alu instid0(VALU_DEP_2) | instskip(NEXT) | instid1(VALU_DEP_1)
	v_lshrrev_b16 v70, 11, v12
	v_mul_lo_u16 v12, v70, 26
	s_wait_dscnt 0x4
	v_lshrrev_b32_e32 v32, 16, v46
	s_wait_dscnt 0x3
	v_lshrrev_b32_e32 v35, 16, v44
	v_lshrrev_b32_e32 v71, 16, v36
	s_wait_dscnt 0x0
	v_lshrrev_b32_e32 v34, 16, v40
	v_sub_nc_u16 v12, v48, v12
	v_lshrrev_b32_e32 v48, 16, v38
	v_lshrrev_b32_e32 v50, 16, v42
	s_delay_alu instid0(VALU_DEP_3) | instskip(NEXT) | instid1(VALU_DEP_1)
	v_and_b32_e32 v67, 0xff, v12
	v_mad_co_u64_u32 v[28:29], null, v67, 48, s[10:11]
	global_load_b128 v[12:15], v[28:29], off offset:96
	s_wait_loadcnt 0x3
	v_lshrrev_b32_e32 v134, 16, v8
	s_wait_loadcnt 0x2
	v_lshrrev_b32_e32 v128, 16, v3
	v_lshrrev_b32_e32 v133, 16, v9
	;; [unrolled: 1-line block ×4, first 2 shown]
	v_mul_f16_e64 v33, v32, v134
	v_mul_f16_e64 v31, v46, v134
	;; [unrolled: 1-line block ×5, first 2 shown]
	v_fma_f16 v33, v46, v8, -v33
	v_mul_f16_e64 v46, v34, v128
	v_fmac_f16_e32 v31, v32, v8
	v_fmac_f16_e64 v144, v34, v3
	v_mul_f16_e64 v32, v44, v133
	v_fma_f16 v34, v44, v9, -v49
	v_fma_f16 v147, v40, v3, -v46
	v_mul_f16_e64 v46, v48, v129
	v_fmac_f16_e64 v152, v48, v2
	ds_load_2addr_b32 v[48:49], v68 offset0:16 offset1:68
	v_sub_f16_e64 v143, v31, v144
	v_sub_f16_e64 v131, v33, v147
	v_fmac_f16_e32 v32, v35, v9
	v_add_f16_e64 v44, v31, v144
	v_add_f16_e64 v40, v33, v147
	v_mul_f16_e64 v35, 0xba95, v143
	v_mul_f16_e64 v151, 0xba95, v131
	;; [unrolled: 1-line block ×3, first 2 shown]
	v_fma_f16 v174, v38, v2, -v46
	v_sub_f16_e64 v149, v32, v152
	v_fma_f16 v150, v40, 0x388b, -v35
	v_fma_f16 v51, v44, 0x388b, -v151
	v_fmac_f16_e32 v35, 0x388b, v40
	v_fma_f16 v157, v40, 0x2fb7, -v52
	v_add_f16_e64 v46, v34, v174
	v_fmac_f16_e32 v52, 0x2fb7, v40
	v_add_f16_e32 v54, v71, v51
	v_mul_f16_e64 v51, 0xbb7b, v149
	v_lshrrev_b32_e32 v135, 16, v1
	v_mul_f16_e64 v127, v42, v132
	v_add_f16_e32 v35, v36, v35
	v_add_f16_e32 v58, v36, v52
	v_fma_f16 v158, v46, 0xb5ac, -v51
	v_fmac_f16_e32 v51, 0xb5ac, v46
	s_wait_dscnt 0x0
	v_lshrrev_b32_e32 v52, 16, v48
	v_mul_f16_e64 v175, v48, v135
	v_fmac_f16_e32 v127, v50, v10
	v_mul_f16_e64 v50, v50, v132
	v_sub_f16_e64 v148, v34, v174
	v_mul_f16_e64 v62, v52, v135
	v_fmac_f16_e64 v175, v52, v1
	ds_load_2addr_b32 v[52:53], v56 offset0:160 offset1:212
	v_add_f16_e32 v35, v51, v35
	v_fma_f16 v190, v42, v10, -v50
	ds_load_2addr_b32 v[50:51], v69 offset0:168 offset1:220
	v_mul_f16_e64 v165, 0xbbf1, v131
	v_add_f16_e64 v38, v32, v152
	v_mul_f16_e64 v166, 0xbb7b, v148
	v_fma_f16 v183, v48, v1, -v62
	v_sub_f16_e64 v153, v127, v175
	v_mul_f16_e64 v55, 0xb3a8, v149
	v_fma_f16 v59, v44, 0x2fb7, -v165
	v_fma_f16 v61, v38, 0xb5ac, -v166
	v_mul_f16_e64 v179, 0xb3a8, v148
	v_add_f16_e64 v42, v190, v183
	v_mul_f16_e64 v48, 0xb3a8, v153
	v_fma_f16 v177, v46, 0xbbc4, -v55
	v_fmac_f16_e32 v55, 0xbbc4, v46
	v_add_f16_e32 v61, v61, v54
	v_add_f16_e32 v54, v71, v59
	v_fma_f16 v59, v38, 0xbbc4, -v179
	v_fma_f16 v178, v42, 0xbbc4, -v48
	v_lshrrev_b32_e32 v141, 16, v11
	v_fmac_f16_e32 v48, 0xbbc4, v42
	v_lshrrev_b32_e32 v138, 16, v0
	v_add_f16_e32 v62, v55, v58
	v_add_f16_e32 v63, v59, v54
	s_wait_dscnt 0x1
	v_lshrrev_b32_e32 v54, 16, v52
	v_mul_f16_e64 v192, v52, v141
	v_add_f16_e32 v35, v48, v35
	s_wait_dscnt 0x0
	v_lshrrev_b32_e32 v48, 16, v50
	v_mul_f16_e64 v184, v50, v138
	v_sub_f16_e64 v154, v190, v183
	ds_load_2addr_b32 v[58:59], v65 offset0:8 offset1:60
	v_fmac_f16_e64 v192, v54, v11
	v_mul_f16_e64 v54, v54, v141
	v_mul_f16_e64 v55, v48, v138
	v_fmac_f16_e64 v184, v48, v0
	v_add_f16_e64 v48, v127, v175
	v_mul_f16_e64 v181, 0xb3a8, v154
	v_fma_f16 v193, v52, v11, -v54
	v_fma_f16 v189, v50, v0, -v55
	v_sub_f16_e64 v155, v192, v184
	ds_load_2addr_b32 v[54:55], v69 offset0:64 offset1:116
	v_fma_f16 v142, v48, 0xbbc4, -v181
	v_mul_f16_e64 v52, 0x3b7b, v153
	v_mul_f16_e64 v185, 0x3b7b, v154
	v_add_f16_e64 v50, v193, v189
	v_mul_f16_e64 v140, 0x394e, v155
	v_add_f16_e64 v146, v142, v61
	s_wait_loadcnt 0x1
	v_lshrrev_b32_e32 v142, 16, v4
	v_fma_f16 v188, v42, 0xb5ac, -v52
	v_fmac_f16_e32 v52, 0xb5ac, v42
	v_fma_f16 v145, v48, 0xb5ac, -v185
	v_fma_f16 v186, v50, 0xb9fd, -v140
	v_fmac_f16_e64 v140, 0xb9fd, v50
	s_wait_dscnt 0x1
	v_lshrrev_b32_e32 v61, 16, v58
	v_mul_f16_e64 v198, v58, v142
	v_add_f16_e64 v180, v52, v62
	v_add_f16_e64 v182, v145, v63
	;; [unrolled: 1-line block ×3, first 2 shown]
	v_sub_f16_e64 v171, v193, v189
	v_lshrrev_b32_e32 v140, 16, v7
	v_fmac_f16_e64 v198, v61, v4
	v_mul_f16_e64 v194, v61, v142
	ds_load_2addr_b32 v[62:63], v65 offset0:112 offset1:164
	ds_load_2addr_b32 v[60:61], v60 offset0:88 offset1:140
	v_add_f16_e64 v52, v192, v184
	v_mul_f16_e64 v191, 0x394e, v171
	v_mul_f16_e64 v145, 0x3770, v155
	s_wait_dscnt 0x2
	v_lshrrev_b32_e32 v176, 16, v54
	v_mul_f16_e64 v197, v54, v140
	v_fma_f16 v204, v58, v4, -v194
	v_fma_f16 v199, v52, 0xb9fd, -v191
	;; [unrolled: 1-line block ×3, first 2 shown]
	v_mul_f16_e64 v195, v176, v140
	v_fmac_f16_e64 v197, v176, v7
	v_fmac_f16_e64 v145, 0x3b15, v50
	v_mul_f16_e64 v196, 0x3770, v171
	v_add_f16_e64 v207, v199, v146
	v_fma_f16 v203, v54, v7, -v195
	v_sub_f16_e64 v176, v198, v197
	v_add_f16_e64 v210, v145, v180
	v_fma_f16 v180, v52, 0x3b15, -v196
	v_lshrrev_b32_e32 v146, 16, v5
	v_lshrrev_b32_e32 v145, 16, v6
	v_add_f16_e64 v54, v204, v203
	v_mul_f16_e64 v58, 0x3bf1, v176
	s_wait_dscnt 0x1
	v_lshrrev_b32_e32 v199, 16, v62
	v_mul_f16_e64 v206, v62, v146
	v_add_f16_e64 v182, v180, v182
	s_wait_dscnt 0x0
	v_lshrrev_b32_e32 v180, 16, v60
	v_mul_f16_e64 v205, v60, v145
	v_fma_f16 v195, v54, 0x2fb7, -v58
	v_fmac_f16_e32 v58, 0x2fb7, v54
	v_fmac_f16_e64 v206, v199, v5
	v_mul_f16_e64 v199, v199, v146
	v_mul_f16_e64 v200, v180, v145
	v_fmac_f16_e64 v205, v180, v6
	v_sub_f16_e64 v180, v204, v203
	v_add_f16_e32 v35, v58, v35
	v_add_f16_e64 v58, v198, v197
	v_fma_f16 v209, v62, v5, -v199
	v_fma_f16 v208, v60, v6, -v200
	v_sub_f16_e64 v62, v206, v205
	v_mul_f16_e64 v212, 0xba95, v176
	v_mul_f16_e64 v199, 0xba95, v180
	v_add_f16_e32 v33, v36, v33
	v_add_f16_e32 v31, v71, v31
	v_mul_f16_e64 v200, 0x3bf1, v180
	v_add_f16_e64 v60, v209, v208
	v_mul_f16_e64 v214, 0x3770, v62
	v_fma_f16 v202, v54, 0x388b, -v212
	v_fmac_f16_e64 v212, 0x388b, v54
	v_fma_f16 v215, v58, 0x388b, -v199
	v_add_f16_e64 v217, v33, v34
	v_add_f16_e32 v31, v31, v32
	v_fma_f16 v211, v58, 0x2fb7, -v200
	v_fma_f16 v201, v60, 0x3b15, -v214
	v_fmac_f16_e64 v214, 0x3b15, v60
	v_add_f16_e64 v213, v212, v210
	v_add_f16_e64 v212, v215, v182
	v_sub_f16_e64 v182, v209, v208
	v_add_f16_e64 v190, v217, v190
	v_add_f16_e32 v31, v31, v127
	v_add_f16_e64 v211, v211, v207
	v_add_f16_e64 v210, v214, v35
	global_load_b128 v[32:35], v[28:29], off offset:112
	v_add_f16_e64 v207, v206, v205
	v_mul_f16_e64 v215, 0x3770, v182
	v_add_f16_e64 v190, v190, v193
	v_add_f16_e64 v31, v31, v192
	v_mul_f16_e64 v214, 0xb94e, v62
	v_mul_f16_e64 v218, 0xb94e, v182
	v_fma_f16 v127, v207, 0x3b15, -v215
	v_add_f16_e64 v190, v190, v204
	v_add_f16_e64 v31, v31, v198
	v_fma_f16 v216, v60, 0xb9fd, -v214
	v_fmac_f16_e64 v214, 0xb9fd, v60
	v_add_f16_e64 v193, v127, v211
	v_add_lshl_u32 v127, v30, v66, 2
	v_add_f16_e64 v66, v190, v209
	v_add_f16_e64 v190, v31, v206
	global_load_b128 v[28:31], v[28:29], off offset:128
	v_add_f16_e64 v213, v214, v213
	v_fma_f16 v214, v207, 0xb9fd, -v218
	v_add_f16_e64 v66, v66, v208
	v_add_f16_e64 v190, v190, v205
	v_pack_b32_f16 v206, v210, v193
	v_mul_f16_e64 v208, 0xb770, v131
	v_add_f16_e64 v192, v214, v212
	v_add_f16_e64 v66, v66, v203
	v_mul_f16_e64 v198, 0xba95, v149
	v_mul_f16_e64 v203, 0xba95, v148
	;; [unrolled: 1-line block ×3, first 2 shown]
	v_pack_b32_f16 v211, v213, v192
	v_add_f16_e64 v192, v190, v197
	v_add_f16_e64 v66, v66, v189
	v_mul_f16_e64 v190, 0xb770, v143
	v_fma_f16 v197, 0x388b, v38, v203
	v_fma_f16 v151, 0x388b, v44, v151
	v_add_f16_e64 v184, v192, v184
	v_add_f16_e64 v66, v66, v183
	v_fma_f16 v189, v40, 0x3b15, -v190
	v_fma_f16 v192, 0x3b15, v44, v208
	v_fma_f16 v209, 0x2fb7, v48, v204
	v_add_f16_e64 v175, v184, v175
	v_add_f16_e64 v210, v66, v174
	v_add_f16_e64 v183, v36, v189
	v_fma_f16 v189, v46, 0x388b, -v198
	v_add_f16_e64 v193, v71, v192
	v_add_f16_e64 v175, v175, v152
	;; [unrolled: 1-line block ×3, first 2 shown]
	v_mul_f16_e64 v192, 0xbbf1, v153
	v_add_f16_e64 v183, v189, v183
	v_add_f16_e64 v184, v197, v193
	;; [unrolled: 1-line block ×3, first 2 shown]
	v_mul_f16_e64 v189, 0xbb7b, v155
	v_fma_f16 v197, v42, 0x2fb7, -v192
	v_mul_f16_e64 v193, 0xbb7b, v171
	v_add_f16_e64 v150, v36, v150
	v_pack_b32_f16 v144, v147, v144
	v_fma_f16 v147, 0x2fb7, v44, v165
	v_add_f16_e64 v151, v71, v151
	v_fma_f16 v165, 0xb5ac, v38, v166
	v_add_f16_e64 v157, v36, v157
	;; [unrolled: 2-line block ×3, first 2 shown]
	v_add_f16_e64 v66, v197, v183
	v_add_f16_e64 v183, v209, v184
	v_fma_f16 v184, v50, 0xb5ac, -v189
	v_fma_f16 v209, 0xb5ac, v52, v193
	v_mul_f16_e64 v174, 0xb94e, v176
	v_mul_f16_e64 v197, 0xb94e, v180
	v_add_f16_e64 v150, v158, v150
	v_add_f16_e64 v151, v165, v151
	v_fma_f16 v158, 0xbbc4, v48, v181
	v_add_f16_e64 v157, v177, v157
	v_add_f16_e64 v147, v166, v147
	v_fma_f16 v165, 0xb5ac, v48, v185
	v_add_f16_e64 v184, v184, v66
	v_add_f16_e64 v183, v209, v183
	v_fma_f16 v209, v54, 0xb9fd, -v174
	v_mul_f16_e32 v66, 0xb3a8, v62
	v_fma_f16 v212, 0xb9fd, v58, v197
	v_mul_f16_e64 v152, 0xb3a8, v182
	v_add_f16_e64 v151, v158, v151
	v_fma_f16 v158, 0xb9fd, v52, v191
	v_add_f16_e64 v157, v188, v157
	v_add_f16_e64 v147, v165, v147
	v_fma_f16 v165, 0x3b15, v52, v196
	v_add_f16_e64 v150, v178, v150
	v_add_f16_e64 v184, v209, v184
	v_fma_f16 v209, v60, 0xbbc4, -v66
	v_add_f16_e64 v183, v212, v183
	v_fma_f16 v210, 0xbbc4, v207, v152
	v_add_f16_e64 v151, v158, v151
	v_fma_f16 v158, 0x2fb7, v58, v200
	v_add_f16_e64 v157, v194, v157
	v_add_f16_e64 v147, v165, v147
	v_fma_f16 v165, 0x388b, v58, v199
	v_add_f16_e64 v150, v186, v150
	v_add_f16_e64 v175, v209, v184
	v_add_f16_e64 v183, v210, v183
	v_add_f16_e64 v151, v158, v151
	v_add_f16_e64 v157, v202, v157
	v_fma_f16 v158, 0x3b15, v207, v215
	v_add_f16_e64 v147, v165, v147
	v_fma_f16 v165, 0xb9fd, v207, v218
	v_mul_f16_e64 v166, 0xbb7b, v143
	v_add_f16_e64 v150, v195, v150
	v_add_f16_e64 v151, v158, v151
	;; [unrolled: 1-line block ×4, first 2 shown]
	v_pack_b32_f16 v158, v175, v183
	v_fma_f16 v165, v40, 0xb5ac, -v166
	v_mul_f16_e64 v175, 0x394e, v149
	v_add_f16_e64 v150, v201, v150
	v_add_nc_u32_e32 v205, 0x400, v127
	v_pack_b32_f16 v147, v157, v147
	v_add_f16_e64 v157, v36, v165
	v_fma_f16 v165, v46, 0xb9fd, -v175
	v_pack_b32_f16 v150, v150, v151
	global_wb scope:SCOPE_SE
	s_wait_loadcnt 0x0
	s_barrier_signal -1
	s_barrier_wait -1
	global_inv scope:SCOPE_SE
	ds_store_2addr_b32 v205, v211, v206 offset0:4 offset1:30
	v_mul_f16_e64 v151, 0xbb7b, v131
	ds_store_2addr_b32 v127, v144, v158 offset1:26
	ds_store_2addr_b32 v127, v150, v147 offset0:52 offset1:78
	v_mul_f16_e64 v147, 0xb94e, v143
	v_add_f16_e64 v150, v165, v157
	v_mul_f16_e64 v157, 0xb94e, v131
	v_fma_f16 v144, 0xb5ac, v44, v151
	v_mul_f16_e64 v158, 0x394e, v148
	v_fma_f16 v165, v40, 0xb9fd, -v147
	v_mul_f16_e64 v177, 0x3bf1, v149
	v_fma_f16 v178, 0xb9fd, v44, v157
	v_mul_f16_e64 v181, 0x3bf1, v148
	v_add_f16_e64 v144, v71, v144
	v_fma_f16 v179, 0xb9fd, v38, v158
	v_add_f16_e64 v165, v36, v165
	v_fma_f16 v183, v46, 0x2fb7, -v177
	v_add_f16_e64 v178, v71, v178
	v_mul_f16_e64 v184, 0x3770, v153
	v_fma_f16 v185, 0x2fb7, v38, v181
	v_mul_f16_e64 v186, 0x3770, v154
	v_add_f16_e64 v144, v179, v144
	v_add_f16_e64 v165, v183, v165
	v_fma_f16 v179, v42, 0x3b15, -v184
	v_add_f16_e64 v178, v185, v178
	v_fma_f16 v183, 0x3b15, v48, v186
	v_mul_f16_e64 v185, 0xba95, v153
	v_mul_f16_e64 v188, 0xba95, v154
	v_add_f16_e64 v150, v179, v150
	v_mul_f16_e64 v179, 0xbbf1, v155
	v_add_f16_e64 v144, v183, v144
	v_fma_f16 v183, v42, 0x388b, -v185
	v_mul_f16_e64 v194, 0xbbf1, v171
	v_fma_f16 v191, 0x388b, v48, v188
	v_fma_f16 v195, v50, 0x2fb7, -v179
	v_mul_f16_e64 v196, 0x33a8, v155
	v_add_f16_e64 v165, v183, v165
	v_fma_f16 v183, 0x2fb7, v52, v194
	v_add_f16_e64 v178, v191, v178
	v_add_f16_e64 v150, v195, v150
	v_fma_f16 v191, v50, 0xbbc4, -v196
	v_mul_f16_e64 v195, 0x33a8, v171
	v_mul_f16_e64 v199, 0x33a8, v176
	v_add_f16_e64 v144, v183, v144
	v_mul_f16_e64 v183, 0x33a8, v180
	v_add_f16_e64 v165, v191, v165
	v_fma_f16 v191, 0xbbc4, v52, v195
	v_fma_f16 v200, v54, 0xbbc4, -v199
	v_mul_f16_e64 v201, 0x3770, v176
	v_fma_f16 v202, 0xbbc4, v58, v183
	v_mul_f16_e64 v205, 0x3770, v180
	v_add_f16_e64 v178, v191, v178
	v_add_f16_e64 v150, v200, v150
	v_fma_f16 v191, v54, 0x3b15, -v201
	v_add_f16_e64 v144, v202, v144
	v_fma_f16 v200, 0x3b15, v58, v205
	v_mul_f16_e64 v202, 0x3a95, v62
	v_mul_f16_e64 v206, 0x3a95, v182
	v_add_f16_e64 v165, v191, v165
	v_mul_f16_e64 v191, 0xbb7b, v62
	v_add_f16_e64 v178, v200, v178
	v_fma_f16 v200, v60, 0x388b, -v202
	v_fma_f16 v209, 0x388b, v207, v206
	v_mul_f16_e64 v210, 0xbb7b, v182
	v_mul_f16_e64 v143, 0xb3a8, v143
	v_fma_f16 v211, v60, 0xb5ac, -v191
	v_add_f16_e64 v150, v200, v150
	v_add_f16_e64 v144, v209, v144
	v_fma_f16 v200, 0xb5ac, v207, v210
	v_fma_f16 v209, v40, 0xbbc4, -v143
	v_mul_f16_e64 v149, 0x3770, v149
	v_mul_f16_e64 v131, 0xb3a8, v131
	v_add_f16_e64 v165, v211, v165
	v_add_f16_e64 v178, v200, v178
	v_pack_b32_f16 v144, v150, v144
	v_add_f16_e64 v150, v36, v209
	v_fma_f16 v200, v46, 0x3b15, -v149
	v_fma_f16 v209, 0xbbc4, v44, v131
	v_mul_f16_e64 v148, 0x3770, v148
	v_fma_f16 v131, v44, 0xbbc4, -v131
	v_pack_b32_f16 v165, v165, v178
	v_fmac_f16_e64 v143, 0xbbc4, v40
	v_add_f16_e64 v150, v200, v150
	v_add_f16_e64 v178, v71, v209
	v_fma_f16 v200, 0x3b15, v38, v148
	v_mul_f16_e64 v153, 0xb94e, v153
	v_add_f16_e64 v131, v71, v131
	v_fma_f16 v148, v38, 0x3b15, -v148
	v_add_f16_e64 v143, v36, v143
	v_fmac_f16_e64 v149, 0x3b15, v46
	v_add_f16_e64 v178, v200, v178
	v_fma_f16 v200, v42, 0xb9fd, -v153
	v_mul_f16_e64 v154, 0xb94e, v154
	v_add_f16_e64 v131, v148, v131
	v_mul_f16_e64 v148, 0x3a95, v155
	v_add_f16_e64 v143, v149, v143
	v_add_f16_e64 v149, v200, v150
	v_fma_f16 v150, 0xb9fd, v48, v154
	v_fmac_f16_e64 v153, 0xb9fd, v42
	v_fma_f16 v154, v48, 0xb9fd, -v154
	v_fma_f16 v155, v50, 0x388b, -v148
	v_mul_f16_e64 v171, 0x3a95, v171
	v_add_f16_e64 v150, v150, v178
	v_add_f16_e64 v143, v153, v143
	;; [unrolled: 1-line block ×4, first 2 shown]
	v_fma_f16 v153, 0x388b, v52, v171
	v_mul_f16_e64 v154, 0xbb7b, v176
	v_fmac_f16_e64 v148, 0x388b, v50
	v_mul_f16_e64 v155, 0xbb7b, v180
	v_fma_f16 v171, v52, 0x388b, -v171
	v_add_f16_e64 v150, v153, v150
	v_fma_f16 v153, v54, 0xb5ac, -v154
	v_add_f16_e64 v143, v148, v143
	v_fma_f16 v148, 0xb5ac, v58, v155
	v_mul_f16_e32 v62, 0x3bf1, v62
	v_fmac_f16_e64 v154, 0xb5ac, v54
	v_add_f16_e64 v131, v171, v131
	v_add_f16_e64 v149, v153, v149
	v_add_f16_e64 v148, v148, v150
	v_fma_f16 v150, v58, 0xb5ac, -v155
	v_fma_f16 v153, v60, 0x2fb7, -v62
	v_mul_f16_e64 v155, 0x3bf1, v182
	v_add_f16_e64 v143, v154, v143
	v_fmac_f16_e64 v166, 0xb5ac, v40
	v_fma_f16 v151, v44, 0xb5ac, -v151
	v_fmac_f16_e64 v147, 0xb9fd, v40
	v_fma_f16 v154, v44, 0xb9fd, -v157
	v_add_f16_e64 v131, v150, v131
	v_add_f16_e64 v149, v153, v149
	v_fma_f16 v150, 0x2fb7, v207, v155
	v_add_f16_e64 v153, v36, v166
	v_fmac_f16_e64 v175, 0xb9fd, v46
	v_add_f16_e64 v151, v71, v151
	v_fma_f16 v157, v38, 0xb9fd, -v158
	v_add_f16_e64 v147, v36, v147
	v_fmac_f16_e64 v177, 0x2fb7, v46
	v_add_f16_e64 v154, v71, v154
	v_fma_f16 v158, v38, 0x2fb7, -v181
	v_add_f16_e64 v148, v150, v148
	v_add_f16_e64 v150, v175, v153
	;; [unrolled: 1-line block ×5, first 2 shown]
	v_fmac_f16_e64 v184, 0x3b15, v42
	v_fma_f16 v154, v48, 0x3b15, -v186
	v_fmac_f16_e64 v185, 0x388b, v42
	v_fma_f16 v157, v48, 0x388b, -v188
	v_fmac_f16_e32 v62, 0x2fb7, v60
	v_add_f16_e64 v150, v184, v150
	v_add_f16_e64 v151, v154, v151
	;; [unrolled: 1-line block ×4, first 2 shown]
	v_fmac_f16_e64 v179, 0x2fb7, v50
	v_fma_f16 v154, v52, 0x2fb7, -v194
	v_fmac_f16_e64 v196, 0xbbc4, v50
	v_fma_f16 v157, v52, 0xbbc4, -v195
	v_add_f16_e64 v62, v62, v143
	v_add_f16_e64 v143, v179, v150
	;; [unrolled: 1-line block ×5, first 2 shown]
	v_fma_f16 v153, v58, 0xbbc4, -v183
	v_fmac_f16_e64 v201, 0x3b15, v54
	v_fma_f16 v154, v58, 0x3b15, -v205
	v_fmac_f16_e64 v199, 0xbbc4, v54
	v_fma_f16 v155, v207, 0x2fb7, -v155
	v_add_f16_e64 v150, v153, v150
	v_add_f16_e64 v147, v201, v147
	;; [unrolled: 1-line block ×3, first 2 shown]
	v_fmac_f16_e64 v191, 0xb5ac, v60
	v_fma_f16 v153, v207, 0xb5ac, -v210
	v_add_f16_e64 v143, v199, v143
	v_fmac_f16_e64 v202, 0x388b, v60
	v_fma_f16 v154, v207, 0x388b, -v206
	v_add_f16_e64 v131, v155, v131
	v_add_f16_e64 v147, v191, v147
	;; [unrolled: 1-line block ×5, first 2 shown]
	ds_store_2addr_b32 v127, v144, v165 offset0:104 offset1:130
	v_pack_b32_f16 v144, v149, v148
	v_pack_b32_f16 v62, v62, v131
	;; [unrolled: 1-line block ×3, first 2 shown]
	v_lshrrev_b32_e32 v147, 16, v47
	v_lshrrev_b32_e32 v186, 16, v12
	;; [unrolled: 1-line block ×4, first 2 shown]
	v_pack_b32_f16 v143, v143, v150
	ds_store_2addr_b32 v127, v144, v62 offset0:156 offset1:182
	ds_store_2addr_b32 v127, v131, v143 offset0:208 offset1:234
	v_mul_f16_e64 v62, v147, v186
	v_mul_f16_e64 v131, v47, v186
	;; [unrolled: 1-line block ×3, first 2 shown]
	v_lshrrev_b32_e32 v144, 16, v43
	v_lshrrev_b32_e32 v184, 16, v14
	v_fma_f16 v149, v47, v12, -v62
	v_fmac_f16_e64 v131, v147, v12
	v_fma_f16 v143, v45, v13, -v143
	v_mul_f16_e64 v147, v45, v183
	v_mul_f16_e64 v45, v144, v184
	v_lshrrev_b32_e32 v47, 16, v53
	v_lshrrev_b32_e32 v185, 16, v15
	;; [unrolled: 1-line block ×6, first 2 shown]
	v_mul_f16_e64 v62, v47, v185
	v_fma_f16 v153, v43, v14, -v45
	v_mul_f16_e64 v45, v150, v182
	v_mul_f16_e64 v154, v43, v184
	;; [unrolled: 1-line block ×3, first 2 shown]
	v_fma_f16 v155, v53, v15, -v62
	v_mul_f16_e64 v157, v53, v185
	v_fma_f16 v62, v59, v32, -v45
	v_mul_f16_e64 v59, v59, v182
	;; [unrolled: 2-line block ×3, first 2 shown]
	v_fmac_f16_e64 v147, v148, v13
	v_lshrrev_b32_e32 v63, 16, v61
	v_lshrrev_b32_e32 v180, 16, v34
	v_fmac_f16_e64 v154, v144, v14
	v_lshrrev_b32_e32 v144, 16, v55
	v_lshrrev_b32_e32 v179, 16, v35
	;; [unrolled: 1-line block ×4, first 2 shown]
	v_fmac_f16_e64 v157, v47, v15
	v_mul_f16_e64 v47, v63, v180
	v_fmac_f16_e64 v59, v150, v32
	v_mul_f16_e64 v150, v144, v179
	;; [unrolled: 2-line block ×3, first 2 shown]
	v_fma_f16 v44, v44, 0x3b15, -v208
	v_fma_f16 v53, v61, v34, -v47
	v_mul_f16_e64 v47, v61, v180
	v_fma_f16 v61, v55, v35, -v150
	v_mul_f16_e64 v55, v55, v179
	;; [unrolled: 2-line block ×3, first 2 shown]
	v_fmac_f16_e64 v190, 0x3b15, v40
	v_add_f16_e32 v40, v71, v44
	v_lshrrev_b32_e32 v44, 16, v49
	v_lshrrev_b32_e32 v178, 16, v29
	v_fmac_f16_e32 v66, 0xbbc4, v60
	v_lshrrev_b32_e32 v60, 16, v37
	v_fmac_f16_e64 v198, 0x388b, v46
	v_fma_f16 v38, v38, 0x388b, -v203
	v_fmac_f16_e64 v55, v144, v35
	v_fmac_f16_e64 v51, v148, v28
	v_mul_f16_e64 v46, v44, v178
	v_lshrrev_b32_e32 v176, 16, v31
	v_add_f16_e64 v144, v37, v149
	v_add_f16_e64 v148, v60, v131
	;; [unrolled: 1-line block ×3, first 2 shown]
	v_add_f16_e32 v38, v38, v40
	v_fmac_f16_e64 v192, 0x2fb7, v42
	v_fma_f16 v40, v48, 0x2fb7, -v204
	v_fma_f16 v42, v49, v29, -v46
	v_lshrrev_b32_e32 v46, 16, v41
	v_mul_f16_e64 v48, v49, v178
	v_mul_f16_e64 v49, v41, v176
	v_add_f16_e64 v144, v144, v143
	v_add_f16_e64 v148, v148, v147
	;; [unrolled: 1-line block ×3, first 2 shown]
	v_add_f16_e32 v38, v40, v38
	v_fmac_f16_e64 v189, 0xb5ac, v50
	v_mul_f16_e64 v40, v46, v176
	v_lshrrev_b32_e32 v50, 16, v39
	v_lshrrev_b32_e32 v181, 16, v30
	v_fma_f16 v52, v52, 0xb5ac, -v193
	v_fmac_f16_e32 v49, v46, v31
	v_add_f16_e64 v144, v144, v153
	v_add_f16_e64 v148, v148, v154
	;; [unrolled: 1-line block ×3, first 2 shown]
	v_fma_f16 v40, v41, v31, -v40
	v_mul_f16_e64 v41, v50, v181
	v_add_f16_e32 v38, v52, v38
	v_sub_f16_e64 v52, v131, v49
	v_add_f16_e64 v144, v144, v155
	v_add_f16_e64 v148, v148, v157
	;; [unrolled: 1-line block ×3, first 2 shown]
	v_fmac_f16_e64 v174, 0xb9fd, v54
	v_fma_f16 v46, v58, 0xb9fd, -v197
	v_fma_f16 v41, v39, v30, -v41
	v_mul_f16_e64 v54, v39, v181
	v_add_f16_e64 v39, v149, v40
	v_mul_f16_e32 v58, 0xb770, v52
	v_mul_f16_e32 v71, 0xba95, v52
	v_mul_f16_e64 v151, 0xbbf1, v52
	v_mul_f16_e64 v165, 0xbb7b, v52
	;; [unrolled: 1-line block ×3, first 2 shown]
	v_mul_f16_e32 v52, 0xb3a8, v52
	v_add_f16_e64 v144, v144, v62
	v_add_f16_e64 v148, v148, v59
	v_fmac_f16_e32 v47, v63, v34
	v_add_f16_e64 v36, v174, v36
	v_add_f16_e32 v38, v46, v38
	v_fma_f16 v46, v207, 0xbbc4, -v152
	v_fma_f16 v63, v39, 0x3b15, -v58
	v_fmac_f16_e32 v58, 0x3b15, v39
	v_fma_f16 v152, v39, 0x388b, -v71
	v_fmac_f16_e32 v71, 0x388b, v39
	v_fma_f16 v158, v39, 0x2fb7, -v151
	v_fmac_f16_e64 v151, 0x2fb7, v39
	v_fma_f16 v171, v39, 0xb5ac, -v165
	v_fmac_f16_e64 v165, 0xb5ac, v39
	;; [unrolled: 2-line block ×3, first 2 shown]
	v_fma_f16 v188, v39, 0xbbc4, -v52
	v_fmac_f16_e32 v52, 0xbbc4, v39
	v_add_f16_e64 v39, v144, v45
	v_add_f16_e64 v144, v148, v43
	v_fmac_f16_e32 v48, v44, v29
	v_fmac_f16_e32 v54, v50, v30
	v_add_f16_e32 v63, v37, v63
	v_add_f16_e32 v39, v39, v53
	v_add_f16_e64 v144, v144, v47
	v_add_f16_e32 v58, v37, v58
	v_add_f16_e64 v148, v37, v152
	v_add_f16_e32 v71, v37, v71
	v_add_f16_e32 v39, v39, v61
	v_add_f16_e64 v144, v144, v55
	v_add_f16_e64 v152, v37, v158
	;; [unrolled: 1-line block ×9, first 2 shown]
	v_add_f16_e32 v39, v39, v42
	v_add_f16_e32 v44, v44, v48
	v_add_f16_e64 v166, v37, v188
	v_add_f16_e32 v50, v37, v52
	v_sub_f16_e64 v52, v149, v40
	v_add_f16_e32 v37, v39, v41
	v_add_f16_e32 v39, v44, v54
	;; [unrolled: 1-line block ×3, first 2 shown]
	v_add_f16_e64 v44, v131, v49
	v_mul_f16_e32 v66, 0xb770, v52
	v_add_f16_e32 v37, v37, v40
	v_mul_f16_e32 v40, 0xba95, v52
	v_add_f16_e32 v39, v39, v49
	;; [unrolled: 2-line block ×3, first 2 shown]
	v_fmamk_f16 v46, v44, 0x3b15, v66
	v_fma_f16 v66, v44, 0x3b15, -v66
	v_fma_f16 v131, 0x388b, v44, v40
	v_mul_f16_e64 v149, 0xbb7b, v52
	v_fma_f16 v174, 0x2fb7, v44, v49
	v_mul_f16_e64 v188, 0xb94e, v52
	v_mul_f16_e32 v52, 0xb3a8, v52
	v_fma_f16 v40, v44, 0x388b, -v40
	v_fma_f16 v49, v44, 0x2fb7, -v49
	v_fma_f16 v189, 0xb5ac, v44, v149
	v_fma_f16 v149, v44, 0xb5ac, -v149
	v_fma_f16 v190, 0xb9fd, v44, v188
	;; [unrolled: 2-line block ×3, first 2 shown]
	v_fma_f16 v44, v44, 0xbbc4, -v52
	v_add_f16_e32 v52, v60, v66
	v_add_f16_e64 v66, v60, v131
	v_add_f16_e64 v131, v60, v174
	v_sub_f16_e64 v174, v147, v54
	v_add_f16_e64 v192, v143, v41
	v_sub_f16_e64 v41, v143, v41
	v_add_f16_e64 v54, v147, v54
	v_add_f16_e32 v46, v60, v46
	v_mul_f16_e64 v143, 0xba95, v174
	v_add_f16_e32 v40, v60, v40
	v_mul_f16_e64 v147, 0xba95, v41
	v_add_f16_e32 v49, v60, v49
	v_add_f16_e64 v189, v60, v189
	v_fma_f16 v193, v192, 0x388b, -v143
	v_add_f16_e64 v149, v60, v149
	v_add_f16_e64 v190, v60, v190
	;; [unrolled: 1-line block ×4, first 2 shown]
	v_add_f16_e32 v44, v60, v44
	v_fma_f16 v60, 0x388b, v54, v147
	v_add_f16_e64 v63, v193, v63
	v_mul_f16_e64 v193, 0xbb7b, v174
	v_fmac_f16_e64 v143, 0x388b, v192
	v_fma_f16 v147, v54, 0x388b, -v147
	v_add_f16_e32 v46, v60, v46
	v_mul_f16_e32 v60, 0xbb7b, v41
	v_fma_f16 v194, v192, 0xb5ac, -v193
	v_add_f16_e64 v58, v143, v58
	v_mul_f16_e64 v143, 0xb3a8, v174
	v_add_f16_e64 v52, v147, v52
	v_fma_f16 v147, 0xb5ac, v54, v60
	v_add_f16_e64 v148, v194, v148
	v_fma_f16 v60, v54, 0xb5ac, -v60
	v_fma_f16 v194, v192, 0xbbc4, -v143
	v_fmac_f16_e64 v193, 0xb5ac, v192
	v_add_f16_e64 v66, v147, v66
	v_mul_f16_e64 v147, 0xb3a8, v41
	v_add_f16_e32 v40, v60, v40
	v_add_f16_e64 v60, v194, v152
	v_mul_f16_e64 v152, 0x394e, v174
	v_add_f16_e64 v71, v193, v71
	v_fma_f16 v193, 0xbbc4, v54, v147
	v_fmac_f16_e64 v143, 0xbbc4, v192
	v_fma_f16 v147, v54, 0xbbc4, -v147
	v_mul_f16_e64 v194, 0x394e, v41
	v_fma_f16 v195, v192, 0xb9fd, -v152
	v_add_f16_e64 v131, v193, v131
	v_add_f16_e64 v143, v143, v151
	;; [unrolled: 1-line block ×3, first 2 shown]
	v_fma_f16 v147, 0xb9fd, v54, v194
	v_add_f16_e64 v151, v195, v158
	v_fmac_f16_e64 v152, 0xb9fd, v192
	v_mul_f16_e64 v158, 0x3bf1, v174
	v_mul_f16_e64 v193, 0x3bf1, v41
	v_add_f16_e64 v147, v147, v189
	v_fma_f16 v189, v54, 0xb9fd, -v194
	v_add_f16_e64 v152, v152, v165
	v_fma_f16 v165, v192, 0x2fb7, -v158
	v_fma_f16 v194, 0x2fb7, v54, v193
	v_fmac_f16_e64 v158, 0x2fb7, v192
	v_mul_f16_e64 v174, 0x3770, v174
	v_mul_f16_e32 v41, 0x3770, v41
	v_add_f16_e64 v165, v165, v171
	v_add_f16_e64 v171, v194, v190
	v_sub_f16_e64 v190, v154, v48
	v_add_f16_e64 v149, v189, v149
	v_add_f16_e64 v144, v158, v144
	v_fma_f16 v158, v192, 0x3b15, -v174
	v_fmac_f16_e64 v174, 0x3b15, v192
	v_fma_f16 v189, v54, 0x2fb7, -v193
	v_fma_f16 v192, 0x3b15, v54, v41
	v_fma_f16 v41, v54, 0x3b15, -v41
	v_add_f16_e64 v54, v153, v42
	v_sub_f16_e64 v42, v153, v42
	v_mul_f16_e64 v153, 0xbbf1, v190
	v_add_f16_e64 v158, v158, v166
	v_add_f16_e64 v48, v154, v48
	v_add_f16_e32 v41, v41, v44
	v_mul_f16_e64 v154, 0xbbf1, v42
	v_fma_f16 v166, v54, 0x2fb7, -v153
	v_fmac_f16_e64 v153, 0x2fb7, v54
	v_add_f16_e64 v50, v174, v50
	v_add_f16_e64 v188, v189, v188
	v_fma_f16 v44, 0x2fb7, v48, v154
	v_add_f16_e64 v63, v166, v63
	v_mul_f16_e64 v166, 0xb3a8, v190
	v_fma_f16 v154, v48, 0x2fb7, -v154
	v_add_f16_e64 v58, v153, v58
	v_add_f16_e32 v44, v44, v46
	v_mul_f16_e32 v46, 0xb3a8, v42
	v_fma_f16 v174, v54, 0xbbc4, -v166
	v_mul_f16_e64 v153, 0x3b7b, v190
	v_add_f16_e64 v52, v154, v52
	v_fmac_f16_e64 v166, 0xbbc4, v54
	v_fma_f16 v154, 0xbbc4, v48, v46
	v_add_f16_e64 v148, v174, v148
	v_fma_f16 v46, v48, 0xbbc4, -v46
	v_fma_f16 v174, v54, 0xb5ac, -v153
	v_fmac_f16_e64 v153, 0xb5ac, v54
	v_add_f16_e64 v66, v154, v66
	v_mul_f16_e64 v154, 0x3b7b, v42
	v_add_f16_e32 v40, v46, v40
	v_add_f16_e64 v46, v174, v60
	v_mul_f16_e64 v174, 0x3770, v42
	v_add_f16_e64 v71, v166, v71
	v_mul_f16_e64 v60, 0x3770, v190
	v_fma_f16 v166, 0xb5ac, v48, v154
	v_fma_f16 v154, v48, 0xb5ac, -v154
	v_add_f16_e64 v143, v153, v143
	v_fma_f16 v153, 0x3b15, v48, v174
	v_add_f16_e64 v189, v192, v191
	v_fma_f16 v191, v54, 0x3b15, -v60
	v_add_f16_e64 v131, v166, v131
	v_add_f16_e64 v49, v154, v49
	v_fmac_f16_e32 v60, 0x3b15, v54
	v_mul_f16_e64 v154, 0xba95, v190
	v_mul_f16_e64 v166, 0xba95, v42
	v_add_f16_e64 v147, v153, v147
	v_fma_f16 v153, v48, 0x3b15, -v174
	v_add_f16_e64 v60, v60, v152
	v_fma_f16 v152, v54, 0x388b, -v154
	v_fma_f16 v174, 0x388b, v48, v166
	v_fmac_f16_e64 v154, 0x388b, v54
	v_add_f16_e64 v149, v153, v149
	v_mul_f16_e64 v153, 0xb94e, v190
	v_mul_f16_e32 v42, 0xb94e, v42
	v_add_f16_e64 v152, v152, v165
	v_add_f16_e64 v165, v174, v171
	;; [unrolled: 1-line block ×3, first 2 shown]
	v_fma_f16 v154, v54, 0xb9fd, -v153
	v_fmac_f16_e64 v153, 0xb9fd, v54
	v_fma_f16 v54, v48, 0x388b, -v166
	v_fma_f16 v171, 0xb9fd, v48, v42
	v_fma_f16 v42, v48, 0xb9fd, -v42
	v_add_f16_e64 v48, v155, v150
	v_sub_f16_e64 v150, v155, v150
	v_sub_f16_e64 v166, v157, v51
	v_add_f16_e64 v51, v157, v51
	v_add_f16_e32 v41, v42, v41
	v_add_f16_e64 v154, v154, v158
	v_mul_f16_e64 v157, 0xbb7b, v150
	v_mul_f16_e64 v155, 0xbb7b, v166
	v_add_f16_e64 v50, v153, v50
	v_mul_f16_e64 v153, 0x394e, v166
	v_add_f16_e64 v54, v54, v188
	v_fma_f16 v42, 0xb5ac, v51, v157
	v_fma_f16 v158, v48, 0xb5ac, -v155
	v_fmac_f16_e64 v155, 0xb5ac, v48
	v_fma_f16 v157, v51, 0xb5ac, -v157
	v_add_f16_e64 v151, v191, v151
	v_add_f16_e32 v42, v42, v44
	v_mul_f16_e64 v44, 0x394e, v150
	v_add_f16_e64 v63, v158, v63
	v_fma_f16 v158, v48, 0xb9fd, -v153
	v_add_f16_e64 v58, v155, v58
	v_add_f16_e64 v52, v157, v52
	v_mul_f16_e64 v155, 0x3770, v166
	v_fma_f16 v157, 0xb9fd, v51, v44
	v_add_f16_e64 v148, v158, v148
	v_fmac_f16_e64 v153, 0xb9fd, v48
	v_fma_f16 v44, v51, 0xb9fd, -v44
	v_fma_f16 v158, v48, 0x3b15, -v155
	v_add_f16_e64 v66, v157, v66
	v_mul_f16_e64 v157, 0x3770, v150
	v_add_f16_e64 v71, v153, v71
	v_add_f16_e32 v40, v44, v40
	v_add_f16_e64 v44, v158, v46
	v_mul_f16_e64 v158, 0xbbf1, v150
	v_fma_f16 v153, 0x3b15, v51, v157
	v_mul_f16_e64 v46, 0xbbf1, v166
	v_fmac_f16_e64 v155, 0x3b15, v48
	v_fma_f16 v157, v51, 0x3b15, -v157
	v_add_f16_e64 v171, v171, v189
	v_add_f16_e64 v131, v153, v131
	v_fma_f16 v153, 0x2fb7, v51, v158
	v_fma_f16 v174, v48, 0x2fb7, -v46
	v_add_f16_e64 v143, v155, v143
	v_add_f16_e64 v49, v157, v49
	v_fmac_f16_e32 v46, 0x2fb7, v48
	v_mul_f16_e64 v155, 0x33a8, v166
	v_mul_f16_e64 v157, 0x33a8, v150
	v_add_f16_e64 v147, v153, v147
	v_fma_f16 v153, v51, 0x2fb7, -v158
	v_add_f16_e32 v46, v46, v60
	v_fma_f16 v60, v48, 0xbbc4, -v155
	v_fma_f16 v158, 0xbbc4, v51, v157
	v_fmac_f16_e64 v155, 0xbbc4, v48
	v_add_f16_e64 v149, v153, v149
	v_mul_f16_e64 v153, 0x3a95, v166
	v_mul_f16_e64 v150, 0x3a95, v150
	v_add_f16_e64 v60, v60, v152
	v_add_f16_e64 v152, v158, v165
	;; [unrolled: 1-line block ×3, first 2 shown]
	v_fma_f16 v155, v48, 0x388b, -v153
	v_fmac_f16_e64 v153, 0x388b, v48
	v_fma_f16 v48, v51, 0xbbc4, -v157
	v_fma_f16 v158, 0x388b, v51, v150
	v_fma_f16 v51, v51, 0x388b, -v150
	v_add_f16_e64 v150, v62, v61
	v_sub_f16_e32 v61, v62, v61
	v_sub_f16_e64 v157, v59, v55
	v_add_f16_e32 v55, v59, v55
	v_add_f16_e32 v41, v51, v41
	;; [unrolled: 1-line block ×3, first 2 shown]
	v_mul_f16_e32 v59, 0xb94e, v61
	v_mul_f16_e64 v62, 0xb94e, v157
	v_add_f16_e64 v54, v155, v154
	v_add_f16_e64 v50, v153, v50
	v_mul_f16_e64 v153, 0x3bf1, v157
	v_fmamk_f16 v51, v55, 0xb9fd, v59
	v_fma_f16 v154, v150, 0xb9fd, -v62
	v_fmac_f16_e64 v62, 0xb9fd, v150
	v_fma_f16 v59, v55, 0xb9fd, -v59
	v_add_f16_e64 v151, v174, v151
	v_add_f16_e32 v42, v51, v42
	v_mul_f16_e32 v51, 0x3bf1, v61
	v_add_f16_e64 v63, v154, v63
	v_fma_f16 v154, v150, 0x2fb7, -v153
	v_add_f16_e32 v58, v62, v58
	v_add_f16_e32 v52, v59, v52
	v_mul_f16_e64 v59, 0xba95, v157
	v_fmamk_f16 v62, v55, 0x2fb7, v51
	v_add_f16_e64 v148, v154, v148
	v_fmac_f16_e64 v153, 0x2fb7, v150
	v_fma_f16 v51, v55, 0x2fb7, -v51
	v_fma_f16 v154, v150, 0x388b, -v59
	v_add_f16_e32 v62, v62, v66
	v_mul_f16_e32 v66, 0xba95, v61
	v_add_f16_e64 v71, v153, v71
	v_add_f16_e32 v40, v51, v40
	v_add_f16_e64 v44, v154, v44
	v_mul_f16_e64 v51, 0x33a8, v157
	v_fma_f16 v153, 0x388b, v55, v66
	v_fma_f16 v66, v55, 0x388b, -v66
	v_mul_f16_e64 v154, 0x33a8, v61
	v_add_f16_e64 v155, v158, v171
	v_fmac_f16_e64 v59, 0x388b, v150
	v_fma_f16 v158, v150, 0xbbc4, -v51
	v_add_f16_e32 v49, v66, v49
	v_fma_f16 v66, 0xbbc4, v55, v154
	v_fmac_f16_e64 v51, 0xbbc4, v150
	v_add_f16_e64 v59, v59, v143
	v_add_f16_e64 v143, v158, v151
	v_mul_f16_e64 v151, 0x3770, v157
	v_add_f16_e64 v66, v66, v147
	v_fma_f16 v147, v55, 0xbbc4, -v154
	v_add_f16_e64 v131, v153, v131
	v_mul_f16_e64 v153, 0x3770, v61
	v_add_f16_e32 v46, v51, v46
	v_fma_f16 v51, v150, 0x3b15, -v151
	v_fmac_f16_e64 v151, 0x3b15, v150
	v_add_f16_e64 v147, v147, v149
	v_mul_f16_e64 v149, 0xbb7b, v157
	v_fma_f16 v154, 0x3b15, v55, v153
	v_mul_f16_e32 v61, 0xbb7b, v61
	v_add_f16_e64 v144, v151, v144
	v_add_f16_e32 v51, v51, v60
	v_fma_f16 v151, v150, 0xb5ac, -v149
	v_fmac_f16_e64 v149, 0xb5ac, v150
	v_sub_f16_e64 v150, v43, v47
	v_add_f16_e64 v60, v154, v152
	v_fma_f16 v152, v55, 0x3b15, -v153
	v_fma_f16 v153, 0xb5ac, v55, v61
	v_fma_f16 v55, v55, 0xb5ac, -v61
	v_add_f16_e32 v61, v45, v53
	v_mul_f16_e64 v154, 0xb3a8, v150
	v_sub_f16_e32 v45, v45, v53
	v_add_f16_e64 v53, v151, v54
	v_add_f16_e32 v43, v43, v47
	v_add_f16_e64 v50, v149, v50
	v_fma_f16 v47, v61, 0xbbc4, -v154
	v_mul_f16_e32 v54, 0xb3a8, v45
	v_add_f16_e32 v41, v55, v41
	v_fmac_f16_e64 v154, 0xbbc4, v61
	v_mul_f16_e64 v149, 0x3770, v45
	v_add_f16_e32 v47, v47, v63
	v_fmamk_f16 v55, v43, 0xbbc4, v54
	v_mul_f16_e64 v63, 0x3770, v150
	v_fma_f16 v54, v43, 0xbbc4, -v54
	v_add_f16_e64 v189, v154, v58
	v_fma_f16 v58, v43, 0x3b15, -v149
	v_add_f16_e32 v42, v55, v42
	v_fma_f16 v55, v61, 0x3b15, -v63
	v_add_f16_e64 v191, v54, v52
	v_fma_f16 v52, 0x3b15, v43, v149
	v_mul_f16_e64 v54, 0xb94e, v150
	v_fmac_f16_e32 v63, 0x3b15, v61
	v_add_f16_e64 v55, v55, v148
	v_mul_f16_e64 v148, 0xb94e, v45
	v_add_f16_e32 v52, v52, v62
	v_fma_f16 v62, v61, 0xb9fd, -v54
	v_add_f16_e64 v190, v58, v40
	v_mul_f16_e64 v40, 0x3a95, v150
	v_add_f16_e64 v188, v63, v71
	v_fmac_f16_e32 v54, 0xb9fd, v61
	v_add_f16_e32 v44, v62, v44
	v_fma_f16 v62, v43, 0xb9fd, -v148
	v_fma_f16 v63, v61, 0x388b, -v40
	v_mul_f16_e32 v71, 0x3a95, v45
	v_fma_f16 v58, 0xb9fd, v43, v148
	v_add_f16_e32 v54, v54, v59
	v_add_f16_e32 v49, v62, v49
	v_add_f16_e64 v59, v63, v143
	v_fmamk_f16 v62, v43, 0x388b, v71
	v_mul_f16_e64 v63, 0xbb7b, v150
	v_add_f16_e64 v58, v58, v131
	v_fmac_f16_e32 v40, 0x388b, v61
	v_mul_f16_e64 v131, 0xbb7b, v45
	v_add_f16_e32 v62, v62, v66
	v_fma_f16 v66, v61, 0xb5ac, -v63
	v_add_f16_e64 v48, v152, v48
	v_add_f16_e32 v40, v40, v46
	v_fma_f16 v46, 0xb5ac, v43, v131
	v_mul_f16_e32 v45, 0x3bf1, v45
	v_add_f16_e32 v51, v66, v51
	v_fma_f16 v66, v43, 0xb5ac, -v131
	v_fma_f16 v71, v43, 0x388b, -v71
	v_add_f16_e32 v46, v46, v60
	v_mul_f16_e64 v60, 0x3bf1, v150
	v_fmac_f16_e32 v63, 0xb5ac, v61
	v_add_f16_e32 v48, v66, v48
	v_and_b32_e32 v66, 0xffff, v70
	v_add_f16_e64 v151, v153, v155
	v_fma_f16 v70, v61, 0x2fb7, -v60
	v_fmac_f16_e32 v60, 0x2fb7, v61
	v_fmamk_f16 v61, v43, 0x2fb7, v45
	v_fma_f16 v43, v43, 0x2fb7, -v45
	v_mul_u32_u24_e32 v45, 0x152, v66
	v_pack_b32_f16 v36, v36, v38
	v_pack_b32_f16 v37, v37, v39
	;; [unrolled: 1-line block ×3, first 2 shown]
	v_add_f16_e32 v38, v70, v53
	v_add_lshl_u32 v131, v45, v67, 2
	v_add_f16_e64 v53, v61, v151
	v_add_f16_e32 v50, v60, v50
	v_pack_b32_f16 v42, v55, v52
	v_pack_b32_f16 v44, v44, v58
	v_add_f16_e32 v41, v43, v41
	v_add_f16_e64 v71, v71, v147
	v_add_f16_e64 v63, v63, v144
	ds_store_b32 v127, v36 offset:1248
	ds_store_2addr_b32 v131, v37, v39 offset1:26
	ds_store_2addr_b32 v131, v42, v44 offset0:52 offset1:78
	v_pack_b32_f16 v36, v59, v62
	v_pack_b32_f16 v37, v51, v46
	v_pack_b32_f16 v38, v38, v53
	v_pack_b32_f16 v39, v50, v41
	v_pack_b32_f16 v41, v63, v48
	v_pack_b32_f16 v40, v40, v71
	v_pack_b32_f16 v42, v54, v49
	v_pack_b32_f16 v43, v188, v190
	v_add_nc_u32_e32 v44, 0x400, v131
	v_pack_b32_f16 v45, v189, v191
	ds_store_2addr_b32 v131, v36, v37 offset0:104 offset1:130
	ds_store_2addr_b32 v131, v38, v39 offset0:156 offset1:182
	;; [unrolled: 1-line block ×4, first 2 shown]
	ds_store_b32 v131, v45 offset:1248
	v_add_nc_u32_e32 v36, 0xe00, v72
	global_wb scope:SCOPE_SE
	s_wait_dscnt 0x0
	s_barrier_signal -1
	s_barrier_wait -1
	global_inv scope:SCOPE_SE
	ds_load_2addr_b32 v[44:45], v72 offset1:52
	ds_load_2addr_b32 v[70:71], v56 offset0:82 offset1:134
	ds_load_2addr_b32 v[48:49], v65 offset0:164 offset1:216
	;; [unrolled: 1-line block ×11, first 2 shown]
	s_and_saveexec_b32 s0, s2
	s_wait_alu 0xfffe
	s_xor_b32 s0, exec_lo, s0
	s_wait_alu 0xfffe
	s_or_saveexec_b32 s0, s0
	v_add_co_u32 v58, s1, s8, v72
	s_wait_alu 0xf1ff
	v_add_co_ci_u32_e64 v59, null, s9, 0, s1
	v_add_nc_u32_e32 v192, 0x138, v115
                                        ; implicit-def: $vgpr193
                                        ; implicit-def: $vgpr195
                                        ; implicit-def: $vgpr194
                                        ; implicit-def: $vgpr196
	s_wait_alu 0xfffe
	s_xor_b32 exec_lo, exec_lo, s0
	s_cbranch_execz .LBB0_3
; %bb.2:
	ds_load_b32 v188, v72 offset:1248
	ds_load_b32 v189, v72 offset:2600
	;; [unrolled: 1-line block ×4, first 2 shown]
	v_mov_b32_e32 v187, v192
	s_wait_dscnt 0x3
	v_lshrrev_b32_e32 v190, 16, v188
	s_wait_dscnt 0x2
	v_lshrrev_b32_e32 v191, 16, v189
	s_wait_dscnt 0x1
	v_lshrrev_b32_e32 v196, 16, v194
	s_wait_dscnt 0x0
	v_lshrrev_b32_e32 v195, 16, v193
.LBB0_3:
	s_or_b32 exec_lo, exec_lo, s0
	v_mad_co_u64_u32 v[68:69], null, v115, 12, s[10:11]
	s_wait_dscnt 0xa
	v_lshrrev_b32_e32 v50, 16, v70
	v_lshrrev_b32_e32 v150, 16, v71
	s_wait_dscnt 0x9
	v_lshrrev_b32_e32 v154, 16, v48
	v_lshrrev_b32_e32 v157, 16, v49
	;; [unrolled: 3-line block ×3, first 2 shown]
	s_clause 0x1
	global_load_b96 v[36:38], v[68:69], off offset:1344
	global_load_b96 v[39:41], v[68:69], off offset:1968
	s_wait_dscnt 0x4
	v_lshrrev_b32_e32 v199, 16, v54
	s_wait_dscnt 0x1
	v_lshrrev_b32_e32 v203, 16, v63
	;; [unrolled: 2-line block ×3, first 2 shown]
	v_lshlrev_b32_e32 v192, 3, v192
	s_wait_loadcnt 0x1
	v_lshrrev_b32_e32 v144, 16, v36
	v_lshrrev_b32_e32 v148, 16, v38
	s_delay_alu instid0(VALU_DEP_2) | instskip(SKIP_1) | instid1(VALU_DEP_2)
	v_mul_f16_e64 v143, v50, v144
	v_mul_f16_e64 v152, v70, v144
	v_fma_f16 v149, v70, v36, -v143
	s_wait_loadcnt 0x0
	v_lshrrev_b32_e32 v143, 16, v39
	s_delay_alu instid0(VALU_DEP_3) | instskip(NEXT) | instid1(VALU_DEP_2)
	v_fmac_f16_e64 v152, v50, v36
	v_mul_f16_e64 v147, v150, v143
	v_mul_f16_e64 v153, v71, v143
	s_delay_alu instid0(VALU_DEP_2) | instskip(SKIP_1) | instid1(VALU_DEP_3)
	v_fma_f16 v151, v71, v39, -v147
	v_lshrrev_b32_e32 v147, 16, v37
	v_fmac_f16_e64 v153, v150, v39
	s_delay_alu instid0(VALU_DEP_2) | instskip(NEXT) | instid1(VALU_DEP_1)
	v_mul_f16_e64 v70, v154, v147
	v_fma_f16 v155, v48, v37, -v70
	v_lshrrev_b32_e32 v70, 16, v40
	v_mul_f16_e64 v48, v48, v147
	s_delay_alu instid0(VALU_DEP_3) | instskip(NEXT) | instid1(VALU_DEP_3)
	v_sub_f16_e64 v50, v44, v155
	v_mul_f16_e64 v71, v157, v70
	s_delay_alu instid0(VALU_DEP_3)
	v_fmac_f16_e64 v48, v154, v37
	v_lshrrev_b32_e32 v154, 16, v44
	v_lshrrev_b32_e32 v155, 16, v45
	v_fma_f16 v44, v44, 2.0, -v50
	v_fma_f16 v158, v49, v40, -v71
	v_mul_f16_e64 v71, v165, v148
	v_mul_f16_e32 v49, v49, v70
	v_sub_f16_e64 v48, v154, v48
	s_delay_alu instid0(VALU_DEP_4) | instskip(NEXT) | instid1(VALU_DEP_4)
	v_sub_f16_e64 v150, v45, v158
	v_fma_f16 v166, v46, v38, -v71
	v_mul_f16_e64 v46, v46, v148
	v_lshrrev_b32_e32 v71, 16, v41
	v_fmac_f16_e64 v49, v157, v40
	v_fma_f16 v154, v154, 2.0, -v48
	v_sub_f16_e64 v157, v149, v166
	v_fmac_f16_e64 v46, v165, v38
	v_mul_f16_e64 v174, v171, v71
	v_sub_f16_e64 v49, v155, v49
	v_fma_f16 v45, v45, 2.0, -v150
	v_fma_f16 v149, v149, 2.0, -v157
	v_sub_f16_e64 v46, v152, v46
	v_add_f16_e64 v157, v48, v157
	v_fma_f16 v174, v47, v41, -v174
	v_mul_f16_e32 v47, v47, v71
	v_lshrrev_b32_e32 v166, 16, v53
	v_fma_f16 v152, v152, 2.0, -v46
	v_sub_f16_e32 v46, v50, v46
	v_fma_f16 v48, v48, 2.0, -v157
	v_fmac_f16_e64 v47, v171, v41
	s_delay_alu instid0(VALU_DEP_3) | instskip(SKIP_1) | instid1(VALU_DEP_3)
	v_fma_f16 v50, v50, 2.0, -v46
	v_pack_b32_f16 v46, v46, v157
	v_sub_f16_e64 v47, v153, v47
	s_delay_alu instid0(VALU_DEP_3) | instskip(SKIP_2) | instid1(VALU_DEP_4)
	v_pack_b32_f16 v48, v50, v48
	v_sub_f16_e64 v50, v44, v149
	v_sub_f16_e64 v149, v154, v152
	v_fma_f16 v153, v153, 2.0, -v47
	s_delay_alu instid0(VALU_DEP_3) | instskip(NEXT) | instid1(VALU_DEP_3)
	v_fma_f16 v44, v44, 2.0, -v50
	v_fma_f16 v152, v154, 2.0, -v149
	v_pack_b32_f16 v50, v50, v149
	v_sub_f16_e64 v149, v151, v174
	s_delay_alu instid0(VALU_DEP_3) | instskip(SKIP_1) | instid1(VALU_DEP_3)
	v_pack_b32_f16 v44, v44, v152
	v_fma_f16 v152, v155, 2.0, -v49
	v_fma_f16 v151, v151, 2.0, -v149
	s_delay_alu instid0(VALU_DEP_2) | instskip(NEXT) | instid1(VALU_DEP_2)
	v_sub_f16_e64 v153, v152, v153
	v_sub_f16_e64 v151, v45, v151
	s_delay_alu instid0(VALU_DEP_2) | instskip(NEXT) | instid1(VALU_DEP_2)
	v_fma_f16 v152, v152, 2.0, -v153
	v_fma_f16 v45, v45, 2.0, -v151
	v_pack_b32_f16 v153, v151, v153
	s_delay_alu instid0(VALU_DEP_2)
	v_pack_b32_f16 v45, v45, v152
	ds_store_b32 v72, v48 offset:1352
	ds_store_b32 v72, v46 offset:4056
	;; [unrolled: 1-line block ×3, first 2 shown]
	ds_store_2addr_b32 v72, v44, v45 offset1:52
	v_sub_f16_e64 v44, v150, v47
	v_add_f16_e64 v152, v49, v149
	v_lshrrev_b32_e32 v149, 16, v66
	s_delay_alu instid0(VALU_DEP_3) | instskip(NEXT) | instid1(VALU_DEP_3)
	v_fma_f16 v45, v150, 2.0, -v44
	v_fma_f16 v46, v49, 2.0, -v152
	v_lshrrev_b32_e32 v150, 16, v55
	v_pack_b32_f16 v44, v44, v152
	s_delay_alu instid0(VALU_DEP_3)
	v_pack_b32_f16 v154, v45, v46
	s_clause 0x1
	global_load_b96 v[45:47], v[68:69], off offset:2592
	global_load_b96 v[48:50], v[68:69], off offset:3216
	ds_store_b32 v72, v153 offset:2912
	s_wait_loadcnt 0x1
	v_lshrrev_b32_e32 v151, 16, v45
	s_delay_alu instid0(VALU_DEP_1) | instskip(SKIP_1) | instid1(VALU_DEP_2)
	v_mul_f16_e64 v155, v66, v151
	v_mul_f16_e64 v157, v149, v151
	v_fmac_f16_e64 v155, v149, v45
	v_lshrrev_b32_e32 v149, 16, v46
	s_delay_alu instid0(VALU_DEP_3) | instskip(SKIP_1) | instid1(VALU_DEP_3)
	v_fma_f16 v66, v66, v45, -v157
	v_lshrrev_b32_e32 v157, 16, v51
	v_mul_f16_e64 v158, v55, v149
	v_mul_f16_e64 v165, v150, v149
	s_delay_alu instid0(VALU_DEP_2) | instskip(SKIP_1) | instid1(VALU_DEP_3)
	v_fmac_f16_e64 v158, v150, v46
	v_lshrrev_b32_e32 v150, 16, v47
	v_fma_f16 v55, v55, v46, -v165
	s_delay_alu instid0(VALU_DEP_3) | instskip(NEXT) | instid1(VALU_DEP_3)
	v_sub_f16_e64 v158, v157, v158
	v_mul_f16_e64 v171, v53, v150
	s_delay_alu instid0(VALU_DEP_3) | instskip(NEXT) | instid1(VALU_DEP_2)
	v_sub_f16_e32 v55, v51, v55
	v_fmac_f16_e64 v171, v166, v47
	v_mul_f16_e64 v166, v166, v150
	s_delay_alu instid0(VALU_DEP_3) | instskip(NEXT) | instid1(VALU_DEP_3)
	v_fma_f16 v51, v51, 2.0, -v55
	v_sub_f16_e64 v171, v155, v171
	s_delay_alu instid0(VALU_DEP_3) | instskip(NEXT) | instid1(VALU_DEP_2)
	v_fma_f16 v53, v53, v47, -v166
	v_sub_f16_e64 v165, v55, v171
	s_delay_alu instid0(VALU_DEP_2) | instskip(NEXT) | instid1(VALU_DEP_2)
	v_sub_f16_e32 v53, v66, v53
	v_fma_f16 v166, v55, 2.0, -v165
	s_delay_alu instid0(VALU_DEP_2)
	v_add_f16_e64 v174, v158, v53
	v_fma_f16 v53, v66, 2.0, -v53
	v_fma_f16 v66, v155, 2.0, -v171
	v_lshrrev_b32_e32 v55, 16, v52
	v_add_nc_u32_e32 v171, 0xc00, v72
	v_pack_b32_f16 v152, v165, v174
	v_add_nc_u32_e32 v165, 0x1000, v72
	v_fma_f16 v197, v158, 2.0, -v174
	v_sub_f16_e32 v53, v51, v53
	ds_store_2addr_b32 v165, v44, v152 offset0:42 offset1:94
	v_lshrrev_b32_e32 v44, 16, v67
	s_wait_loadcnt 0x0
	v_lshrrev_b32_e32 v152, 16, v48
	v_pack_b32_f16 v197, v166, v197
	v_add_nc_u32_e32 v166, 0x400, v72
	v_fma_f16 v51, v51, 2.0, -v53
	s_delay_alu instid0(VALU_DEP_4)
	v_mul_f16_e64 v153, v44, v152
	v_mul_f16_e64 v174, v67, v152
	ds_store_2addr_b32 v166, v154, v197 offset0:134 offset1:186
	v_lshrrev_b32_e32 v197, 16, v56
	v_fma_f16 v154, v67, v48, -v153
	v_lshrrev_b32_e32 v67, 16, v49
	v_fmac_f16_e64 v174, v44, v48
	v_fma_f16 v44, v157, 2.0, -v158
	s_delay_alu instid0(VALU_DEP_3) | instskip(NEXT) | instid1(VALU_DEP_2)
	v_mul_f16_e64 v153, v197, v67
	v_sub_f16_e32 v66, v44, v66
	s_delay_alu instid0(VALU_DEP_2) | instskip(SKIP_2) | instid1(VALU_DEP_4)
	v_fma_f16 v198, v56, v49, -v153
	v_lshrrev_b32_e32 v153, 16, v50
	v_mul_f16_e32 v56, v56, v67
	v_fma_f16 v44, v44, 2.0, -v66
	s_delay_alu instid0(VALU_DEP_4) | instskip(NEXT) | instid1(VALU_DEP_4)
	v_sub_f16_e64 v155, v52, v198
	v_mul_f16_e64 v200, v199, v153
	s_delay_alu instid0(VALU_DEP_4) | instskip(NEXT) | instid1(VALU_DEP_4)
	v_fmac_f16_e64 v56, v197, v49
	v_pack_b32_f16 v44, v51, v44
	v_lshrrev_b32_e32 v197, 16, v60
	v_fma_f16 v52, v52, 2.0, -v155
	v_fma_f16 v200, v54, v50, -v200
	v_mul_f16_e64 v54, v54, v153
	v_sub_f16_e32 v51, v55, v56
	s_delay_alu instid0(VALU_DEP_3) | instskip(NEXT) | instid1(VALU_DEP_3)
	v_sub_f16_e64 v56, v154, v200
	v_fmac_f16_e64 v54, v199, v50
	s_delay_alu instid0(VALU_DEP_3) | instskip(SKIP_1) | instid1(VALU_DEP_4)
	v_fma_f16 v55, v55, 2.0, -v51
	v_add_nc_u32_e32 v199, 0x600, v72
	v_fma_f16 v154, v154, 2.0, -v56
	s_delay_alu instid0(VALU_DEP_4) | instskip(NEXT) | instid1(VALU_DEP_2)
	v_sub_f16_e64 v54, v174, v54
	v_sub_f16_e64 v154, v52, v154
	s_delay_alu instid0(VALU_DEP_2) | instskip(NEXT) | instid1(VALU_DEP_2)
	v_fma_f16 v157, v174, 2.0, -v54
	v_fma_f16 v52, v52, 2.0, -v154
	s_delay_alu instid0(VALU_DEP_2) | instskip(NEXT) | instid1(VALU_DEP_1)
	v_sub_f16_e64 v157, v55, v157
	v_fma_f16 v55, v55, 2.0, -v157
	s_delay_alu instid0(VALU_DEP_1)
	v_pack_b32_f16 v52, v52, v55
	ds_store_2addr_b32 v72, v44, v52 offset0:104 offset1:156
	v_pack_b32_f16 v44, v53, v66
	v_pack_b32_f16 v52, v154, v157
	ds_store_2addr_b32 v171, v44, v52 offset0:12 offset1:64
	v_sub_f16_e64 v44, v155, v54
	v_add_f16_e32 v52, v51, v56
	s_delay_alu instid0(VALU_DEP_2) | instskip(NEXT) | instid1(VALU_DEP_2)
	v_fma_f16 v53, v155, 2.0, -v44
	v_fma_f16 v51, v51, 2.0, -v52
	v_pack_b32_f16 v44, v44, v52
	s_delay_alu instid0(VALU_DEP_2)
	v_pack_b32_f16 v66, v53, v51
	s_clause 0x1
	global_load_b96 v[51:53], v[68:69], off offset:3840
	global_load_b96 v[54:56], v[68:69], off offset:4464
	v_lshrrev_b32_e32 v68, 16, v64
	ds_store_b32 v72, v44 offset:4680
	v_lshrrev_b32_e32 v44, 16, v65
	s_wait_loadcnt 0x1
	v_lshrrev_b32_e32 v69, 16, v51
	v_lshrrev_b32_e32 v154, 16, v52
	s_delay_alu instid0(VALU_DEP_2) | instskip(SKIP_1) | instid1(VALU_DEP_3)
	v_mul_f16_e64 v174, v64, v69
	v_mul_f16_e64 v155, v68, v69
	;; [unrolled: 1-line block ×3, first 2 shown]
	s_delay_alu instid0(VALU_DEP_3) | instskip(SKIP_1) | instid1(VALU_DEP_4)
	v_fmac_f16_e64 v174, v68, v51
	v_lshrrev_b32_e32 v68, 16, v62
	v_fma_f16 v64, v64, v51, -v155
	s_delay_alu instid0(VALU_DEP_2) | instskip(SKIP_2) | instid1(VALU_DEP_2)
	v_fmac_f16_e64 v157, v68, v52
	v_mul_f16_e64 v158, v68, v154
	v_lshrrev_b32_e32 v68, 16, v53
	v_fma_f16 v62, v62, v52, -v158
	s_delay_alu instid0(VALU_DEP_2) | instskip(SKIP_2) | instid1(VALU_DEP_3)
	v_mul_f16_e64 v198, v60, v68
	s_wait_loadcnt 0x0
	v_lshrrev_b32_e32 v158, 16, v55
	v_sub_f16_e32 v62, v42, v62
	s_delay_alu instid0(VALU_DEP_3) | instskip(SKIP_1) | instid1(VALU_DEP_2)
	v_fmac_f16_e64 v198, v197, v53
	v_mul_f16_e64 v197, v197, v68
	v_sub_f16_e64 v198, v174, v198
	s_delay_alu instid0(VALU_DEP_2) | instskip(SKIP_2) | instid1(VALU_DEP_4)
	v_fma_f16 v60, v60, v53, -v197
	v_lshrrev_b32_e32 v197, 16, v42
	v_fma_f16 v42, v42, 2.0, -v62
	v_sub_f16_e64 v201, v62, v198
	s_delay_alu instid0(VALU_DEP_4) | instskip(NEXT) | instid1(VALU_DEP_4)
	v_sub_f16_e32 v60, v64, v60
	v_sub_f16_e64 v200, v197, v157
	s_delay_alu instid0(VALU_DEP_3) | instskip(SKIP_1) | instid1(VALU_DEP_3)
	v_fma_f16 v155, v62, 2.0, -v201
	v_lshrrev_b32_e32 v62, 16, v43
	v_add_f16_e64 v202, v200, v60
	v_fma_f16 v60, v64, 2.0, -v60
	v_fma_f16 v64, v174, 2.0, -v198
	v_add_nc_u32_e32 v174, 0x200, v72
	v_add_nc_u32_e32 v198, 0x340, v172
	v_fma_f16 v157, v200, 2.0, -v202
	v_sub_f16_e32 v60, v42, v60
	s_delay_alu instid0(VALU_DEP_2) | instskip(SKIP_1) | instid1(VALU_DEP_3)
	v_pack_b32_f16 v155, v155, v157
	v_lshrrev_b32_e32 v157, 16, v54
	v_fma_f16 v42, v42, 2.0, -v60
	ds_store_2addr_b32 v199, v66, v155 offset0:110 offset1:162
	v_mul_f16_e64 v66, v44, v157
	v_mul_f16_e64 v155, v203, v158
	s_delay_alu instid0(VALU_DEP_2) | instskip(SKIP_1) | instid1(VALU_DEP_3)
	v_fma_f16 v66, v65, v54, -v66
	v_mul_f16_e64 v65, v65, v157
	v_fma_f16 v204, v63, v55, -v155
	v_lshrrev_b32_e32 v155, 16, v56
	v_mul_f16_e64 v63, v63, v158
	s_delay_alu instid0(VALU_DEP_4) | instskip(SKIP_1) | instid1(VALU_DEP_4)
	v_fmac_f16_e32 v65, v44, v54
	v_fma_f16 v44, v197, 2.0, -v200
	v_mul_f16_e64 v206, v205, v155
	s_delay_alu instid0(VALU_DEP_4) | instskip(SKIP_1) | instid1(VALU_DEP_4)
	v_fmac_f16_e64 v63, v203, v55
	v_sub_f16_e64 v197, v43, v204
	v_sub_f16_e32 v64, v44, v64
	s_delay_alu instid0(VALU_DEP_4) | instskip(SKIP_4) | instid1(VALU_DEP_4)
	v_fma_f16 v206, v61, v56, -v206
	v_mul_f16_e64 v61, v61, v155
	v_sub_f16_e32 v63, v62, v63
	v_fma_f16 v43, v43, 2.0, -v197
	v_fma_f16 v44, v44, 2.0, -v64
	v_fmac_f16_e64 v61, v205, v56
	s_delay_alu instid0(VALU_DEP_4) | instskip(NEXT) | instid1(VALU_DEP_3)
	v_fma_f16 v62, v62, 2.0, -v63
	v_pack_b32_f16 v42, v42, v44
	v_sub_f16_e64 v44, v66, v206
	s_delay_alu instid0(VALU_DEP_4) | instskip(NEXT) | instid1(VALU_DEP_2)
	v_sub_f16_e32 v61, v65, v61
	v_fma_f16 v66, v66, 2.0, -v44
	s_delay_alu instid0(VALU_DEP_2) | instskip(SKIP_1) | instid1(VALU_DEP_3)
	v_fma_f16 v65, v65, 2.0, -v61
	v_sub_f16_e64 v61, v197, v61
	v_sub_f16_e32 v66, v43, v66
	s_delay_alu instid0(VALU_DEP_3) | instskip(NEXT) | instid1(VALU_DEP_2)
	v_sub_f16_e32 v65, v62, v65
	v_fma_f16 v43, v43, 2.0, -v66
	s_delay_alu instid0(VALU_DEP_2) | instskip(NEXT) | instid1(VALU_DEP_1)
	v_fma_f16 v62, v62, 2.0, -v65
	v_pack_b32_f16 v43, v43, v62
	v_add_f16_e32 v62, v63, v44
	ds_store_2addr_b32 v174, v42, v43 offset0:80 offset1:132
	v_pack_b32_f16 v42, v60, v64
	v_pack_b32_f16 v43, v66, v65
	v_fma_f16 v63, v63, 2.0, -v62
	ds_store_2addr_b32 v171, v42, v43 offset0:116 offset1:168
	v_pack_b32_f16 v42, v201, v202
	v_pack_b32_f16 v43, v61, v62
	v_fma_f16 v61, v197, 2.0, -v61
	v_add_nc_u32_e32 v197, 0x4e0, v172
	ds_store_2addr_b32 v165, v42, v43 offset0:198 offset1:250
	v_mul_i32_i24_e32 v42, 12, v187
	v_mul_hi_i32_i24_e32 v43, 12, v187
	v_pack_b32_f16 v63, v61, v63
	s_delay_alu instid0(VALU_DEP_3) | instskip(SKIP_1) | instid1(VALU_DEP_3)
	v_add_co_u32 v42, s0, s10, v42
	s_wait_alu 0xf1ff
	v_add_co_ci_u32_e64 v43, s0, s11, v43, s0
	ds_store_b32 v72, v63 offset:2392
	global_load_b96 v[42:44], v[42:43], off offset:1344
	s_wait_loadcnt 0x0
	v_lshrrev_b32_e32 v60, 16, v42
	v_lshrrev_b32_e32 v62, 16, v43
	;; [unrolled: 1-line block ×3, first 2 shown]
	s_delay_alu instid0(VALU_DEP_3) | instskip(SKIP_1) | instid1(VALU_DEP_4)
	v_mul_f16_e64 v64, v191, v60
	v_mul_f16_e64 v65, v189, v60
	;; [unrolled: 1-line block ×4, first 2 shown]
	s_delay_alu instid0(VALU_DEP_4) | instskip(NEXT) | instid1(VALU_DEP_4)
	v_fma_f16 v64, v189, v42, -v64
	v_fmac_f16_e64 v65, v191, v42
	v_mul_f16_e64 v189, v195, v61
	v_mul_f16_e64 v191, v193, v61
	v_fma_f16 v66, v194, v43, -v66
	v_fmac_f16_e64 v187, v196, v43
	v_add_nc_u32_e32 v196, 0x680, v172
	v_fma_f16 v189, v193, v44, -v189
	v_fmac_f16_e64 v191, v195, v44
	v_sub_f16_e64 v200, v188, v66
	v_sub_f16_e64 v187, v190, v187
	v_add_nc_u32_e32 v195, 0x820, v172
	v_sub_f16_e64 v66, v64, v189
	v_sub_f16_e64 v63, v65, v191
	v_fma_f16 v201, v188, 2.0, -v200
	v_fma_f16 v202, v190, 2.0, -v187
	v_add_nc_u32_e32 v194, 0xb60, v172
	v_fma_f16 v64, v64, 2.0, -v66
	v_fma_f16 v203, v65, 2.0, -v63
	v_add_nc_u32_e32 v193, 0xd00, v172
	v_add_nc_u32_e32 v191, 0xea0, v172
	;; [unrolled: 1-line block ×5, first 2 shown]
	v_sub_f16_e64 v63, v200, v63
	v_add_f16_e64 v65, v187, v66
	v_sub_f16_e64 v64, v201, v64
	v_sub_f16_e64 v66, v202, v203
	s_and_saveexec_b32 s0, vcc_lo
	s_cbranch_execz .LBB0_5
; %bb.4:
	v_fma_f16 v172, v200, 2.0, -v63
	v_fma_f16 v200, v201, 2.0, -v64
	;; [unrolled: 1-line block ×4, first 2 shown]
	s_delay_alu instid0(VALU_DEP_2) | instskip(NEXT) | instid1(VALU_DEP_2)
	v_pack_b32_f16 v200, v200, v201
	v_pack_b32_f16 v172, v172, v187
	v_perm_b32 v187, v66, v64, 0x5040100
	v_perm_b32 v201, v65, v63, 0x5040100
	ds_store_b32 v72, v200 offset:1248
	ds_store_b32 v72, v172 offset:2600
	ds_store_b32 v72, v187 offset:3952
	ds_store_b32 v72, v201 offset:5304
.LBB0_5:
	s_wait_alu 0xfffe
	s_or_b32 exec_lo, exec_lo, s0
	global_wb scope:SCOPE_SE
	s_wait_dscnt 0x0
	s_barrier_signal -1
	s_barrier_wait -1
	global_inv scope:SCOPE_SE
	global_load_b32 v58, v[58:59], off offset:5408
	v_lshlrev_b32_e32 v59, 2, v115
	s_add_nc_u64 s[0:1], s[8:9], 0x1520
	s_clause 0x6
	global_load_b32 v172, v59, s[0:1] offset:208
	global_load_b32 v187, v59, s[0:1] offset:416
	;; [unrolled: 1-line block ×7, first 2 shown]
	ds_load_2addr_b32 v[200:201], v72 offset1:52
	s_wait_dscnt 0x0
	v_lshrrev_b32_e32 v203, 16, v200
	s_wait_loadcnt 0x7
	v_lshrrev_b32_e32 v202, 16, v58
	s_delay_alu instid0(VALU_DEP_1) | instskip(NEXT) | instid1(VALU_DEP_3)
	v_mul_f16_e64 v204, v200, v202
	v_mul_f16_e64 v202, v203, v202
	s_delay_alu instid0(VALU_DEP_2) | instskip(NEXT) | instid1(VALU_DEP_2)
	v_fmac_f16_e64 v204, v203, v58
	v_fma_f16 v58, v200, v58, -v202
	s_delay_alu instid0(VALU_DEP_1)
	v_pack_b32_f16 v58, v58, v204
	ds_store_b32 v72, v58
	s_clause 0x4
	global_load_b32 v200, v59, s[0:1] offset:1872
	global_load_b32 v211, v59, s[0:1] offset:2080
	global_load_b32 v212, v59, s[0:1] offset:2288
	global_load_b32 v213, v59, s[0:1] offset:2496
	global_load_b32 v214, v59, s[0:1] offset:1664
	ds_load_2addr_b32 v[202:203], v166 offset0:160 offset1:212
	s_wait_dscnt 0x0
	v_lshrrev_b32_e32 v204, 16, v203
	s_wait_loadcnt 0x4
	v_lshrrev_b32_e32 v58, 16, v200
	s_wait_loadcnt 0x3
	v_lshrrev_b32_e32 v217, 16, v211
	s_delay_alu instid0(VALU_DEP_2) | instskip(SKIP_2) | instid1(VALU_DEP_3)
	v_mul_f16_e64 v215, v203, v58
	v_mul_f16_e64 v216, v204, v58
	v_add_nc_u32_e32 v58, 0x800, v72
	v_fmac_f16_e64 v215, v204, v200
	s_delay_alu instid0(VALU_DEP_3)
	v_fma_f16 v200, v203, v200, -v216
	ds_load_2addr_b32 v[204:205], v58 offset0:8 offset1:60
	v_pack_b32_f16 v200, v200, v215
	s_wait_dscnt 0x0
	v_lshrrev_b32_e32 v218, 16, v204
	v_mul_f16_e64 v219, v204, v217
	s_delay_alu instid0(VALU_DEP_2) | instskip(NEXT) | instid1(VALU_DEP_2)
	v_mul_f16_e64 v217, v218, v217
	v_fmac_f16_e64 v219, v218, v211
	s_delay_alu instid0(VALU_DEP_2) | instskip(NEXT) | instid1(VALU_DEP_1)
	v_fma_f16 v203, v204, v211, -v217
	v_pack_b32_f16 v203, v203, v219
	ds_store_2addr_b32 v199, v200, v203 offset0:84 offset1:136
	v_lshrrev_b32_e32 v199, 16, v201
	v_lshrrev_b32_e32 v200, 16, v172
	s_delay_alu instid0(VALU_DEP_1) | instskip(SKIP_1) | instid1(VALU_DEP_2)
	v_mul_f16_e64 v203, v199, v200
	v_mul_f16_e64 v204, v201, v200
	v_fma_f16 v201, v201, v172, -v203
	s_clause 0x1
	global_load_b32 v203, v59, s[0:1] offset:2912
	global_load_b32 v211, v59, s[0:1] offset:3120
	v_fmac_f16_e64 v204, v199, v172
	v_add_nc_u32_e32 v172, 0xa00, v72
	global_load_b32 v215, v59, s[0:1] offset:2704
	ds_load_2addr_b32 v[199:200], v172 offset0:88 offset1:140
	s_wait_dscnt 0x0
	v_lshrrev_b32_e32 v217, 16, v199
	s_wait_loadcnt 0x2
	v_lshrrev_b32_e32 v216, 16, v203
	s_delay_alu instid0(VALU_DEP_1) | instskip(NEXT) | instid1(VALU_DEP_3)
	v_mul_f16_e64 v218, v199, v216
	v_mul_f16_e64 v216, v217, v216
	s_delay_alu instid0(VALU_DEP_2) | instskip(NEXT) | instid1(VALU_DEP_2)
	v_fmac_f16_e64 v218, v217, v203
	v_fma_f16 v203, v199, v203, -v216
	s_wait_loadcnt 0x1
	v_lshrrev_b32_e32 v199, 16, v211
	v_lshrrev_b32_e32 v216, 16, v200
	s_delay_alu instid0(VALU_DEP_3) | instskip(NEXT) | instid1(VALU_DEP_3)
	v_pack_b32_f16 v203, v203, v218
	v_mul_f16_e64 v219, v200, v199
	s_delay_alu instid0(VALU_DEP_3) | instskip(NEXT) | instid1(VALU_DEP_2)
	v_mul_f16_e64 v217, v216, v199
	v_fmac_f16_e64 v219, v216, v211
	s_delay_alu instid0(VALU_DEP_2) | instskip(SKIP_4) | instid1(VALU_DEP_2)
	v_fma_f16 v217, v200, v211, -v217
	ds_load_2addr_b32 v[199:200], v72 offset0:104 offset1:156
	v_lshrrev_b32_e32 v211, 16, v187
	s_wait_dscnt 0x0
	v_lshrrev_b32_e32 v216, 16, v199
	v_mul_f16_e64 v220, v199, v211
	s_delay_alu instid0(VALU_DEP_2) | instskip(NEXT) | instid1(VALU_DEP_2)
	v_mul_f16_e64 v211, v216, v211
	v_fmac_f16_e64 v220, v216, v187
	s_delay_alu instid0(VALU_DEP_2) | instskip(SKIP_2) | instid1(VALU_DEP_2)
	v_fma_f16 v211, v199, v187, -v211
	v_lshrrev_b32_e32 v187, 16, v206
	v_lshrrev_b32_e32 v199, 16, v200
	v_mul_f16_e64 v221, v200, v187
	s_delay_alu instid0(VALU_DEP_2) | instskip(NEXT) | instid1(VALU_DEP_2)
	v_mul_f16_e64 v216, v199, v187
	v_fmac_f16_e64 v221, v199, v206
	s_delay_alu instid0(VALU_DEP_2)
	v_fma_f16 v216, v200, v206, -v216
	s_clause 0x7
	global_load_b32 v187, v59, s[0:1] offset:3328
	global_load_b32 v206, v59, s[0:1] offset:3536
	;; [unrolled: 1-line block ×8, first 2 shown]
	ds_load_2addr_b32 v[199:200], v171 offset0:64 offset1:116
	s_wait_dscnt 0x0
	v_lshrrev_b32_e32 v229, 16, v199
	s_wait_loadcnt 0x7
	v_lshrrev_b32_e32 v228, 16, v187
	s_delay_alu instid0(VALU_DEP_1) | instskip(NEXT) | instid1(VALU_DEP_3)
	v_mul_f16_e64 v230, v199, v228
	v_mul_f16_e64 v228, v229, v228
	s_delay_alu instid0(VALU_DEP_2) | instskip(NEXT) | instid1(VALU_DEP_2)
	v_fmac_f16_e64 v230, v229, v187
	v_fma_f16 v228, v199, v187, -v228
	s_wait_loadcnt 0x6
	v_lshrrev_b32_e32 v187, 16, v206
	v_lshrrev_b32_e32 v199, 16, v200
	s_delay_alu instid0(VALU_DEP_2) | instskip(NEXT) | instid1(VALU_DEP_2)
	v_mul_f16_e64 v231, v200, v187
	v_mul_f16_e64 v229, v199, v187
	v_lshrrev_b32_e32 v187, 16, v207
	s_delay_alu instid0(VALU_DEP_3) | instskip(NEXT) | instid1(VALU_DEP_3)
	v_fmac_f16_e64 v231, v199, v206
	v_fma_f16 v229, v200, v206, -v229
	ds_load_2addr_b32 v[199:200], v174 offset0:80 offset1:132
	s_wait_dscnt 0x0
	v_lshrrev_b32_e32 v206, 16, v199
	v_mul_f16_e64 v232, v199, v187
	s_delay_alu instid0(VALU_DEP_2) | instskip(NEXT) | instid1(VALU_DEP_2)
	v_mul_f16_e64 v187, v206, v187
	v_fmac_f16_e64 v232, v206, v207
	s_delay_alu instid0(VALU_DEP_2) | instskip(SKIP_2) | instid1(VALU_DEP_2)
	v_fma_f16 v206, v199, v207, -v187
	v_lshrrev_b32_e32 v187, 16, v208
	v_lshrrev_b32_e32 v199, 16, v200
	v_mul_f16_e64 v233, v200, v187
	s_delay_alu instid0(VALU_DEP_2) | instskip(SKIP_2) | instid1(VALU_DEP_3)
	v_mul_f16_e64 v207, v199, v187
	s_wait_loadcnt 0x5
	v_lshrrev_b32_e32 v187, 16, v222
	v_fmac_f16_e64 v233, v199, v208
	s_delay_alu instid0(VALU_DEP_3) | instskip(SKIP_4) | instid1(VALU_DEP_2)
	v_fma_f16 v207, v200, v208, -v207
	ds_load_2addr_b32 v[199:200], v171 offset0:168 offset1:220
	s_wait_dscnt 0x0
	v_lshrrev_b32_e32 v208, 16, v199
	v_mul_f16_e64 v234, v199, v187
	v_mul_f16_e64 v187, v208, v187
	s_delay_alu instid0(VALU_DEP_2) | instskip(NEXT) | instid1(VALU_DEP_2)
	v_fmac_f16_e64 v234, v208, v222
	v_fma_f16 v208, v199, v222, -v187
	s_wait_loadcnt 0x4
	v_lshrrev_b32_e32 v187, 16, v223
	v_lshrrev_b32_e32 v199, 16, v200
	s_delay_alu instid0(VALU_DEP_2) | instskip(NEXT) | instid1(VALU_DEP_2)
	v_mul_f16_e64 v235, v200, v187
	v_mul_f16_e64 v222, v199, v187
	v_lshrrev_b32_e32 v187, 16, v209
	s_delay_alu instid0(VALU_DEP_3) | instskip(NEXT) | instid1(VALU_DEP_3)
	v_fmac_f16_e64 v235, v199, v223
	v_fma_f16 v222, v200, v223, -v222
	ds_load_2addr_b32 v[199:200], v166 offset0:56 offset1:108
	s_wait_dscnt 0x0
	v_lshrrev_b32_e32 v223, 16, v199
	v_mul_f16_e64 v236, v199, v187
	s_delay_alu instid0(VALU_DEP_2) | instskip(NEXT) | instid1(VALU_DEP_2)
	v_mul_f16_e64 v187, v223, v187
	v_fmac_f16_e64 v236, v223, v209
	s_delay_alu instid0(VALU_DEP_2) | instskip(SKIP_2) | instid1(VALU_DEP_2)
	v_fma_f16 v209, v199, v209, -v187
	v_lshrrev_b32_e32 v187, 16, v210
	v_lshrrev_b32_e32 v199, 16, v200
	v_mul_f16_e64 v237, v200, v187
	s_delay_alu instid0(VALU_DEP_2) | instskip(SKIP_1) | instid1(VALU_DEP_3)
	v_mul_f16_e64 v223, v199, v187
	v_lshrrev_b32_e32 v187, 16, v214
	v_fmac_f16_e64 v237, v199, v210
	v_lshrrev_b32_e32 v199, 16, v202
	s_delay_alu instid0(VALU_DEP_4) | instskip(NEXT) | instid1(VALU_DEP_4)
	v_fma_f16 v223, v200, v210, -v223
	v_mul_f16_e64 v210, v202, v187
	s_delay_alu instid0(VALU_DEP_3) | instskip(SKIP_2) | instid1(VALU_DEP_3)
	v_mul_f16_e64 v200, v199, v187
	s_wait_loadcnt 0x3
	v_lshrrev_b32_e32 v187, 16, v224
	v_fmac_f16_e64 v210, v199, v214
	s_delay_alu instid0(VALU_DEP_3)
	v_fma_f16 v202, v202, v214, -v200
	ds_load_2addr_b32 v[199:200], v165 offset0:16 offset1:68
	v_pack_b32_f16 v202, v202, v210
	s_wait_dscnt 0x0
	v_lshrrev_b32_e32 v214, 16, v199
	v_mul_f16_e64 v238, v199, v187
	s_delay_alu instid0(VALU_DEP_2) | instskip(NEXT) | instid1(VALU_DEP_2)
	v_mul_f16_e64 v187, v214, v187
	v_fmac_f16_e64 v238, v214, v224
	s_delay_alu instid0(VALU_DEP_2) | instskip(SKIP_3) | instid1(VALU_DEP_2)
	v_fma_f16 v214, v199, v224, -v187
	s_wait_loadcnt 0x2
	v_lshrrev_b32_e32 v187, 16, v225
	v_lshrrev_b32_e32 v199, 16, v200
	v_mul_f16_e64 v239, v200, v187
	s_delay_alu instid0(VALU_DEP_2) | instskip(SKIP_2) | instid1(VALU_DEP_3)
	v_mul_f16_e64 v224, v199, v187
	s_wait_loadcnt 0x1
	v_lshrrev_b32_e32 v187, 16, v226
	v_fmac_f16_e64 v239, v199, v225
	s_delay_alu instid0(VALU_DEP_3) | instskip(SKIP_4) | instid1(VALU_DEP_2)
	v_fma_f16 v224, v200, v225, -v224
	ds_load_2addr_b32 v[199:200], v165 offset0:120 offset1:172
	s_wait_dscnt 0x0
	v_lshrrev_b32_e32 v225, 16, v199
	v_mul_f16_e64 v240, v199, v187
	v_mul_f16_e64 v187, v225, v187
	s_delay_alu instid0(VALU_DEP_2) | instskip(NEXT) | instid1(VALU_DEP_2)
	v_fmac_f16_e64 v240, v225, v226
	v_fma_f16 v225, v199, v226, -v187
	s_wait_loadcnt 0x0
	v_lshrrev_b32_e32 v187, 16, v227
	v_lshrrev_b32_e32 v199, 16, v200
	s_delay_alu instid0(VALU_DEP_2) | instskip(NEXT) | instid1(VALU_DEP_2)
	v_mul_f16_e64 v241, v200, v187
	v_mul_f16_e64 v226, v199, v187
	v_lshrrev_b32_e32 v187, 16, v212
	s_delay_alu instid0(VALU_DEP_3) | instskip(SKIP_1) | instid1(VALU_DEP_4)
	v_fmac_f16_e64 v241, v199, v227
	v_lshrrev_b32_e32 v199, 16, v205
	v_fma_f16 v226, v200, v227, -v226
	s_delay_alu instid0(VALU_DEP_4) | instskip(NEXT) | instid1(VALU_DEP_3)
	v_mul_f16_e64 v227, v205, v187
	v_mul_f16_e64 v200, v199, v187
	v_lshrrev_b32_e32 v187, 16, v215
	s_delay_alu instid0(VALU_DEP_3) | instskip(NEXT) | instid1(VALU_DEP_3)
	v_fmac_f16_e64 v227, v199, v212
	v_fma_f16 v205, v205, v212, -v200
	ds_load_2addr_b32 v[199:200], v58 offset0:112 offset1:164
	s_wait_dscnt 0x0
	v_lshrrev_b32_e32 v212, 16, v200
	v_mul_f16_e64 v242, v200, v187
	s_delay_alu instid0(VALU_DEP_2) | instskip(NEXT) | instid1(VALU_DEP_2)
	v_mul_f16_e64 v187, v212, v187
	v_fmac_f16_e64 v242, v212, v215
	s_delay_alu instid0(VALU_DEP_2) | instskip(SKIP_2) | instid1(VALU_DEP_2)
	v_fma_f16 v212, v200, v215, -v187
	v_lshrrev_b32_e32 v187, 16, v213
	v_lshrrev_b32_e32 v200, 16, v199
	v_mul_f16_e64 v243, v199, v187
	s_delay_alu instid0(VALU_DEP_2) | instskip(SKIP_1) | instid1(VALU_DEP_3)
	v_mul_f16_e64 v215, v200, v187
	v_add_nc_u32_e32 v187, 0x1200, v72
	v_fmac_f16_e64 v243, v200, v213
	s_delay_alu instid0(VALU_DEP_3)
	v_fma_f16 v215, v199, v213, -v215
	s_clause 0x1
	global_load_b32 v213, v59, s[0:1] offset:4992
	global_load_b32 v59, v59, s[0:1] offset:5200
	ds_load_2addr_b32 v[199:200], v187 offset0:96 offset1:148
	s_wait_dscnt 0x0
	v_lshrrev_b32_e32 v245, 16, v199
	s_wait_loadcnt 0x1
	v_lshrrev_b32_e32 v244, 16, v213
	s_delay_alu instid0(VALU_DEP_1) | instskip(NEXT) | instid1(VALU_DEP_3)
	v_mul_f16_e64 v246, v199, v244
	v_mul_f16_e64 v244, v245, v244
	s_delay_alu instid0(VALU_DEP_2) | instskip(NEXT) | instid1(VALU_DEP_2)
	v_fmac_f16_e64 v246, v245, v213
	v_fma_f16 v199, v199, v213, -v244
	s_wait_loadcnt 0x0
	v_lshrrev_b32_e32 v213, 16, v59
	v_lshrrev_b32_e32 v244, 16, v200
	s_delay_alu instid0(VALU_DEP_3) | instskip(NEXT) | instid1(VALU_DEP_2)
	v_pack_b32_f16 v199, v199, v246
	v_mul_f16_e64 v245, v244, v213
	v_mul_f16_e64 v213, v200, v213
	s_delay_alu instid0(VALU_DEP_2) | instskip(NEXT) | instid1(VALU_DEP_2)
	v_fma_f16 v200, v200, v59, -v245
	v_fmac_f16_e64 v213, v244, v59
	v_pack_b32_f16 v59, v212, v242
	ds_store_2addr_b32 v58, v59, v203 offset0:164 offset1:216
	v_pack_b32_f16 v59, v201, v204
	v_pack_b32_f16 v201, v211, v220
	;; [unrolled: 1-line block ×3, first 2 shown]
	ds_store_2addr_b32 v72, v59, v201 offset0:52 offset1:104
	v_pack_b32_f16 v59, v217, v219
	v_pack_b32_f16 v201, v228, v230
	ds_store_2addr_b32 v171, v59, v201 offset0:12 offset1:64
	v_pack_b32_f16 v59, v216, v221
	v_pack_b32_f16 v201, v206, v232
	;; [unrolled: 3-line block ×4, first 2 shown]
	ds_store_2addr_b32 v166, v59, v201 offset0:4 offset1:56
	v_pack_b32_f16 v201, v222, v235
	v_add_nc_u32_e32 v59, 0xe00, v72
	ds_store_2addr_b32 v59, v201, v203 offset0:92 offset1:144
	v_pack_b32_f16 v201, v223, v237
	ds_store_2addr_b32 v166, v201, v202 offset0:108 offset1:160
	v_pack_b32_f16 v201, v224, v239
	v_pack_b32_f16 v202, v225, v240
	ds_store_2addr_b32 v165, v201, v202 offset0:68 offset1:120
	v_pack_b32_f16 v201, v226, v241
	ds_store_2addr_b32 v165, v201, v199 offset0:172 offset1:224
	v_pack_b32_f16 v199, v205, v227
	v_pack_b32_f16 v201, v215, v243
	ds_store_2addr_b32 v58, v199, v201 offset0:60 offset1:112
	v_pack_b32_f16 v199, v200, v213
	ds_store_b32 v72, v199 offset:5200
	global_wb scope:SCOPE_SE
	s_wait_dscnt 0x0
	s_barrier_signal -1
	s_barrier_wait -1
	global_inv scope:SCOPE_SE
	ds_load_2addr_b32 v[199:200], v72 offset1:52
	ds_load_2addr_b32 v[201:202], v58 offset0:112 offset1:164
	ds_load_2addr_b32 v[204:205], v172 offset0:88 offset1:140
	;; [unrolled: 1-line block ×12, first 2 shown]
	global_wb scope:SCOPE_SE
	s_wait_dscnt 0x0
	s_barrier_signal -1
	s_barrier_wait -1
	global_inv scope:SCOPE_SE
	v_pk_add_f16 v203, v199, v202 neg_lo:[0,1] neg_hi:[0,1]
	s_delay_alu instid0(VALU_DEP_1) | instskip(SKIP_3) | instid1(VALU_DEP_2)
	v_pk_fma_f16 v202, v199, 2.0, v203 op_sel_hi:[1,0,1] neg_lo:[0,0,1] neg_hi:[0,0,1]
	ds_store_b64 v137, v[202:203]
	v_pk_add_f16 v203, v200, v204 neg_lo:[0,1] neg_hi:[0,1]
	v_pk_add_f16 v137, v206, v205 neg_lo:[0,1] neg_hi:[0,1]
	v_pk_fma_f16 v202, v200, 2.0, v203 op_sel_hi:[1,0,1] neg_lo:[0,0,1] neg_hi:[0,0,1]
	ds_store_b64 v136, v[202:203]
	v_pk_fma_f16 v136, v206, 2.0, v137 op_sel_hi:[1,0,1] neg_lo:[0,0,1] neg_hi:[0,0,1]
	ds_store_b64 v198, v[136:137]
	v_pk_add_f16 v137, v207, v208 neg_lo:[0,1] neg_hi:[0,1]
	s_delay_alu instid0(VALU_DEP_1) | instskip(SKIP_2) | instid1(VALU_DEP_1)
	v_pk_fma_f16 v136, v207, 2.0, v137 op_sel_hi:[1,0,1] neg_lo:[0,0,1] neg_hi:[0,0,1]
	ds_store_b64 v197, v[136:137]
	v_pk_add_f16 v137, v210, v209 neg_lo:[0,1] neg_hi:[0,1]
	v_pk_fma_f16 v136, v210, 2.0, v137 op_sel_hi:[1,0,1] neg_lo:[0,0,1] neg_hi:[0,0,1]
	ds_store_b64 v196, v[136:137]
	v_pk_add_f16 v137, v211, v212 neg_lo:[0,1] neg_hi:[0,1]
	s_delay_alu instid0(VALU_DEP_1) | instskip(SKIP_2) | instid1(VALU_DEP_1)
	v_pk_fma_f16 v136, v211, 2.0, v137 op_sel_hi:[1,0,1] neg_lo:[0,0,1] neg_hi:[0,0,1]
	ds_store_b64 v195, v[136:137]
	v_pk_add_f16 v137, v214, v213 neg_lo:[0,1] neg_hi:[0,1]
	;; [unrolled: 7-line block ×5, first 2 shown]
	v_pk_fma_f16 v136, v201, 2.0, v137 op_sel_hi:[1,0,1] neg_lo:[0,0,1] neg_hi:[0,0,1]
	ds_store_b64 v188, v[136:137]
	global_wb scope:SCOPE_SE
	s_wait_dscnt 0x0
	s_barrier_signal -1
	s_barrier_wait -1
	global_inv scope:SCOPE_SE
	ds_load_2addr_b32 v[188:189], v72 offset0:104 offset1:156
	s_wait_dscnt 0x0
	v_lshrrev_b32_e32 v190, 16, v188
	v_lshrrev_b32_e32 v191, 16, v189
	v_mul_f16_e64 v192, v173, v188
	v_mul_f16_e64 v194, v173, v189
	s_delay_alu instid0(VALU_DEP_4) | instskip(NEXT) | instid1(VALU_DEP_4)
	v_mul_f16_e64 v193, v173, v190
	v_mul_f16_e64 v136, v173, v191
	s_delay_alu instid0(VALU_DEP_4) | instskip(NEXT) | instid1(VALU_DEP_3)
	v_fma_f16 v212, v24, v190, -v192
	v_fmac_f16_e64 v193, v24, v188
	s_delay_alu instid0(VALU_DEP_3)
	v_fmac_f16_e64 v136, v24, v189
	ds_load_2addr_b32 v[188:189], v174 offset0:80 offset1:132
	s_wait_dscnt 0x0
	v_lshrrev_b32_e32 v195, 16, v188
	v_lshrrev_b32_e32 v196, 16, v189
	v_mul_f16_e64 v197, v170, v188
	v_mul_f16_e64 v198, v170, v189
	s_delay_alu instid0(VALU_DEP_4) | instskip(NEXT) | instid1(VALU_DEP_4)
	v_mul_f16_e64 v205, v170, v195
	v_mul_f16_e64 v173, v170, v196
	s_delay_alu instid0(VALU_DEP_4) | instskip(NEXT) | instid1(VALU_DEP_3)
	v_fma_f16 v195, v25, v195, -v197
	v_fmac_f16_e64 v205, v25, v188
	s_delay_alu instid0(VALU_DEP_3)
	v_fmac_f16_e64 v173, v25, v189
	;; [unrolled: 14-line block ×3, first 2 shown]
	ds_load_2addr_b32 v[188:189], v166 offset0:160 offset1:212
	s_wait_dscnt 0x0
	v_lshrrev_b32_e32 v207, 16, v189
	v_mul_f16_e64 v209, v168, v189
	v_lshrrev_b32_e32 v169, 16, v188
	v_mul_f16_e64 v208, v168, v188
	s_delay_alu instid0(VALU_DEP_4) | instskip(NEXT) | instid1(VALU_DEP_3)
	v_mul_f16_e64 v137, v168, v207
	v_mul_f16_e64 v202, v168, v169
	s_delay_alu instid0(VALU_DEP_3) | instskip(SKIP_1) | instid1(VALU_DEP_4)
	v_fma_f16 v201, v27, v169, -v208
	v_fma_f16 v169, v25, v196, -v198
	v_fmac_f16_e64 v137, v27, v189
	ds_load_2addr_b32 v[189:190], v58 offset0:8 offset1:60
	v_fmac_f16_e64 v202, v27, v188
	v_fma_f16 v188, v24, v191, -v194
	v_fma_f16 v168, v26, v200, -v206
	;; [unrolled: 1-line block ×3, first 2 shown]
	s_wait_dscnt 0x0
	v_lshrrev_b32_e32 v191, 16, v189
	v_lshrrev_b32_e32 v192, 16, v190
	v_mul_f16_e64 v194, v167, v189
	s_delay_alu instid0(VALU_DEP_3) | instskip(NEXT) | instid1(VALU_DEP_3)
	v_mul_f16_e64 v210, v167, v191
	v_mul_f16_e64 v25, v167, v192
	;; [unrolled: 1-line block ×3, first 2 shown]
	s_delay_alu instid0(VALU_DEP_4) | instskip(NEXT) | instid1(VALU_DEP_4)
	v_fma_f16 v209, v20, v191, -v194
	v_fmac_f16_e64 v210, v20, v189
	s_delay_alu instid0(VALU_DEP_4)
	v_fmac_f16_e64 v25, v20, v190
	ds_load_2addr_b32 v[189:190], v58 offset0:112 offset1:164
	s_wait_dscnt 0x0
	v_lshrrev_b32_e32 v196, 16, v189
	v_lshrrev_b32_e32 v197, 16, v190
	v_mul_f16_e64 v198, v164, v189
	s_delay_alu instid0(VALU_DEP_3) | instskip(NEXT) | instid1(VALU_DEP_3)
	v_mul_f16_e64 v218, v164, v196
	v_mul_f16_e64 v24, v164, v197
	;; [unrolled: 1-line block ×3, first 2 shown]
	s_delay_alu instid0(VALU_DEP_4) | instskip(NEXT) | instid1(VALU_DEP_4)
	v_fma_f16 v217, v21, v196, -v198
	v_fmac_f16_e64 v218, v21, v189
	s_delay_alu instid0(VALU_DEP_4)
	v_fmac_f16_e64 v24, v21, v190
	ds_load_2addr_b32 v[189:190], v172 offset0:88 offset1:140
	s_wait_dscnt 0x0
	v_lshrrev_b32_e32 v199, 16, v189
	v_lshrrev_b32_e32 v200, 16, v190
	v_mul_f16_e64 v206, v163, v189
	v_mul_f16_e64 v207, v163, v190
	s_delay_alu instid0(VALU_DEP_4) | instskip(NEXT) | instid1(VALU_DEP_4)
	v_mul_f16_e64 v219, v163, v199
	v_mul_f16_e64 v27, v163, v200
	s_delay_alu instid0(VALU_DEP_4) | instskip(NEXT) | instid1(VALU_DEP_3)
	v_fma_f16 v220, v22, v199, -v206
	v_fmac_f16_e64 v219, v22, v189
	s_delay_alu instid0(VALU_DEP_3)
	v_fmac_f16_e64 v27, v22, v190
	ds_load_2addr_b32 v[189:190], v171 offset0:64 offset1:116
	s_wait_dscnt 0x0
	v_lshrrev_b32_e32 v208, 16, v189
	v_lshrrev_b32_e32 v214, 16, v190
	v_mul_f16_e64 v213, v162, v189
	v_mul_f16_e64 v215, v162, v190
	s_delay_alu instid0(VALU_DEP_4) | instskip(NEXT) | instid1(VALU_DEP_4)
	v_mul_f16_e64 v211, v162, v208
	v_mul_f16_e64 v163, v162, v214
	v_fma_f16 v162, v20, v192, -v167
	v_fma_f16 v213, v23, v208, -v213
	;; [unrolled: 1-line block ×3, first 2 shown]
	v_fmac_f16_e64 v211, v23, v189
	v_fmac_f16_e64 v163, v23, v190
	ds_load_2addr_b32 v[189:190], v171 offset0:168 offset1:220
	v_fma_f16 v21, v22, v200, -v207
	v_fma_f16 v22, v23, v214, -v215
	s_wait_dscnt 0x0
	v_lshrrev_b32_e32 v167, 16, v189
	v_lshrrev_b32_e32 v191, 16, v190
	v_mul_f16_e64 v192, v161, v189
	v_mul_f16_e64 v194, v161, v190
	s_delay_alu instid0(VALU_DEP_4) | instskip(NEXT) | instid1(VALU_DEP_4)
	v_mul_f16_e64 v206, v161, v167
	v_mul_f16_e64 v23, v161, v191
	s_delay_alu instid0(VALU_DEP_4) | instskip(NEXT) | instid1(VALU_DEP_3)
	v_fma_f16 v225, v16, v167, -v192
	v_fmac_f16_e64 v206, v16, v189
	s_delay_alu instid0(VALU_DEP_3)
	v_fmac_f16_e64 v23, v16, v190
	ds_load_2addr_b32 v[189:190], v165 offset0:16 offset1:68
	s_wait_dscnt 0x0
	v_lshrrev_b32_e32 v196, 16, v189
	v_lshrrev_b32_e32 v197, 16, v190
	v_mul_f16_e64 v198, v160, v189
	v_mul_f16_e64 v199, v160, v190
	s_delay_alu instid0(VALU_DEP_4) | instskip(NEXT) | instid1(VALU_DEP_4)
	v_mul_f16_e64 v207, v160, v196
	v_mul_f16_e64 v161, v160, v197
	s_delay_alu instid0(VALU_DEP_4) | instskip(NEXT) | instid1(VALU_DEP_3)
	v_fma_f16 v226, v17, v196, -v198
	v_fmac_f16_e64 v207, v17, v189
	s_delay_alu instid0(VALU_DEP_3)
	v_fmac_f16_e64 v161, v17, v190
	ds_load_2addr_b32 v[189:190], v165 offset0:120 offset1:172
	;; [unrolled: 14-line block ×3, first 2 shown]
	v_sub_f16_e64 v198, v195, v227
	v_fma_f16 v18, v18, v208, -v215
	v_add_f16_e64 v200, v195, v227
	v_sub_f16_e64 v196, v205, v221
	s_delay_alu instid0(VALU_DEP_4) | instskip(SKIP_1) | instid1(VALU_DEP_4)
	v_mul_f16_e64 v233, 0xb3a8, v198
	v_mul_f16_e64 v78, 0x3bf1, v198
	;; [unrolled: 1-line block ×6, first 2 shown]
	s_delay_alu instid0(VALU_DEP_4) | instskip(NEXT) | instid1(VALU_DEP_4)
	v_fma_f16 v231, 0x3b7b, v196, v230
	v_fma_f16 v237, 0x33a8, v196, v236
	s_delay_alu instid0(VALU_DEP_4) | instskip(NEXT) | instid1(VALU_DEP_4)
	v_fma_f16 v255, 0xb94e, v196, v254
	v_fma_f16 v87, 0xbbf1, v196, v84
	v_fmac_f16_e64 v84, 0x3bf1, v196
	v_fmac_f16_e64 v254, 0x394e, v196
	;; [unrolled: 1-line block ×3, first 2 shown]
	s_wait_dscnt 0x0
	v_lshrrev_b32_e32 v159, 16, v189
	v_lshrrev_b32_e32 v216, 16, v190
	v_mul_f16_e64 v223, v156, v189
	v_mul_f16_e64 v224, v156, v190
	v_fmac_f16_e64 v236, 0xb3a8, v196
	v_mul_f16_e64 v222, v156, v159
	v_mul_f16_e64 v164, v156, v216
	v_fma_f16 v223, v19, v159, -v223
	v_fma_f16 v156, v16, v191, -v194
	;; [unrolled: 1-line block ×3, first 2 shown]
	ds_load_2addr_b32 v[16:17], v72 offset1:52
	v_fmac_f16_e64 v222, v19, v189
	v_sub_f16_e64 v197, v212, v223
	v_fmac_f16_e64 v164, v19, v190
	v_mul_f16_e64 v191, 0xba95, v198
	v_add_f16_e64 v199, v212, v223
	v_add_f16_e64 v167, v193, v222
	v_mul_f16_e64 v189, 0xb770, v197
	v_fma_f16 v19, v19, v216, -v224
	v_sub_f16_e64 v216, v203, v226
	global_wb scope:SCOPE_SE
	s_wait_dscnt 0x0
	s_barrier_signal -1
	v_fma_f16 v190, 0x3b15, v167, v189
	s_barrier_wait -1
	global_inv scope:SCOPE_SE
	v_add_f16_e64 v192, v16, v190
	v_add_f16_e64 v190, v205, v221
	s_delay_alu instid0(VALU_DEP_1) | instskip(SKIP_3) | instid1(VALU_DEP_4)
	v_fma_f16 v194, 0x388b, v190, v191
	v_fma_f16 v234, 0xbbc4, v190, v233
	;; [unrolled: 1-line block ×3, first 2 shown]
	v_fma_f16 v78, v190, 0x2fb7, -v78
	v_add_f16_e64 v208, v194, v192
	v_lshrrev_b32_e32 v192, 16, v16
	s_delay_alu instid0(VALU_DEP_1) | instskip(NEXT) | instid1(VALU_DEP_1)
	v_add_f16_e64 v194, v192, v212
	v_add_f16_e64 v212, v194, v195
	;; [unrolled: 1-line block ×3, first 2 shown]
	v_sub_f16_e64 v194, v193, v222
	s_delay_alu instid0(VALU_DEP_2) | instskip(SKIP_1) | instid1(VALU_DEP_1)
	v_add_f16_e64 v215, v195, v205
	v_mul_f16_e64 v195, 0x3b15, v199
	v_fma_f16 v193, 0x3770, v194, v195
	v_fmac_f16_e64 v195, 0xb770, v194
	s_delay_alu instid0(VALU_DEP_2) | instskip(SKIP_1) | instid1(VALU_DEP_1)
	v_add_f16_e64 v214, v192, v193
	v_mul_f16_e64 v193, 0x388b, v200
	v_fma_f16 v205, 0x3a95, v196, v193
	v_fmac_f16_e64 v193, 0xba95, v196
	s_delay_alu instid0(VALU_DEP_2) | instskip(SKIP_3) | instid1(VALU_DEP_3)
	v_add_f16_e64 v224, v205, v214
	v_add_f16_e64 v205, v212, v203
	v_sub_f16_e64 v212, v201, v225
	v_add_f16_e64 v214, v201, v225
	v_add_f16_e64 v205, v205, v201
	v_add_f16_e64 v201, v215, v204
	s_delay_alu instid0(VALU_DEP_2) | instskip(NEXT) | instid1(VALU_DEP_2)
	v_add_f16_e64 v205, v205, v209
	v_add_f16_e64 v201, v201, v202
	s_delay_alu instid0(VALU_DEP_2) | instskip(NEXT) | instid1(VALU_DEP_2)
	v_add_f16_e64 v205, v205, v217
	v_add_f16_e64 v201, v201, v210
	;; [unrolled: 3-line block ×5, first 2 shown]
	v_add_f16_e64 v201, v202, v206
	v_sub_f16_e64 v202, v202, v206
	s_delay_alu instid0(VALU_DEP_4) | instskip(NEXT) | instid1(VALU_DEP_4)
	v_add_f16_e64 v225, v205, v226
	v_add_f16_e64 v206, v215, v206
	;; [unrolled: 1-line block ×4, first 2 shown]
	v_mul_f16_e64 v205, 0xbbf1, v216
	v_sub_f16_e64 v204, v204, v207
	v_add_f16_e64 v206, v206, v207
	s_delay_alu instid0(VALU_DEP_3) | instskip(NEXT) | instid1(VALU_DEP_2)
	v_fma_f16 v207, 0x2fb7, v203, v205
	v_add_f16_e64 v221, v206, v221
	v_mul_f16_e64 v206, 0x2fb7, v215
	s_delay_alu instid0(VALU_DEP_3) | instskip(SKIP_1) | instid1(VALU_DEP_3)
	v_add_f16_e64 v208, v207, v208
	v_add_f16_e64 v207, v225, v227
	v_fma_f16 v225, 0x3bf1, v204, v206
	v_fmac_f16_e64 v206, 0xbbf1, v204
	s_delay_alu instid0(VALU_DEP_3) | instskip(SKIP_1) | instid1(VALU_DEP_4)
	v_add_f16_e64 v223, v207, v223
	v_mul_f16_e64 v207, 0xbb7b, v212
	v_add_f16_e64 v225, v225, v224
	v_add_f16_e64 v224, v221, v222
	;; [unrolled: 1-line block ×3, first 2 shown]
	s_delay_alu instid0(VALU_DEP_4) | instskip(NEXT) | instid1(VALU_DEP_3)
	v_fma_f16 v221, 0xb5ac, v201, v207
	v_pack_b32_f16 v223, v224, v223
	s_delay_alu instid0(VALU_DEP_2) | instskip(SKIP_1) | instid1(VALU_DEP_1)
	v_add_f16_e64 v226, v221, v208
	v_mul_f16_e64 v208, 0xb5ac, v214
	v_fma_f16 v221, 0x3b7b, v202, v208
	v_fmac_f16_e64 v208, 0xbb7b, v202
	s_delay_alu instid0(VALU_DEP_2) | instskip(SKIP_3) | instid1(VALU_DEP_3)
	v_add_f16_e64 v225, v221, v225
	v_sub_f16_e64 v221, v209, v213
	v_add_f16_e64 v209, v210, v211
	v_sub_f16_e64 v210, v210, v211
	v_mul_f16_e64 v211, 0xb94e, v221
	s_delay_alu instid0(VALU_DEP_1) | instskip(NEXT) | instid1(VALU_DEP_1)
	v_fma_f16 v213, 0xb9fd, v209, v211
	v_add_f16_e64 v227, v213, v226
	v_mul_f16_e64 v213, 0xb9fd, v222
	s_delay_alu instid0(VALU_DEP_1) | instskip(SKIP_1) | instid1(VALU_DEP_2)
	v_fma_f16 v226, 0x394e, v210, v213
	v_fmac_f16_e64 v213, 0xb94e, v210
	v_add_f16_e64 v228, v226, v225
	v_sub_f16_e64 v225, v217, v220
	v_add_f16_e64 v226, v217, v220
	v_add_f16_e64 v217, v218, v219
	v_sub_f16_e64 v218, v218, v219
	s_delay_alu instid0(VALU_DEP_4) | instskip(NEXT) | instid1(VALU_DEP_1)
	v_mul_f16_e64 v219, 0xb3a8, v225
	v_fma_f16 v220, 0xbbc4, v217, v219
	s_delay_alu instid0(VALU_DEP_1) | instskip(SKIP_1) | instid1(VALU_DEP_1)
	v_add_f16_e64 v227, v220, v227
	v_mul_f16_e64 v220, 0xbbc4, v226
	v_fma_f16 v229, 0x33a8, v218, v220
	v_fmac_f16_e64 v220, 0xb3a8, v218
	s_delay_alu instid0(VALU_DEP_2) | instskip(NEXT) | instid1(VALU_DEP_1)
	v_add_f16_e64 v228, v229, v228
	v_pack_b32_f16 v224, v227, v228
	v_mul_f16_e64 v227, 0xbb7b, v198
	ds_store_2addr_b32 v139, v223, v224 offset1:2
	v_mul_f16_e64 v223, 0xba95, v197
	v_fma_f16 v228, 0xb5ac, v190, v227
	s_delay_alu instid0(VALU_DEP_2) | instskip(NEXT) | instid1(VALU_DEP_1)
	v_fma_f16 v224, 0x388b, v167, v223
	v_add_f16_e64 v224, v16, v224
	s_delay_alu instid0(VALU_DEP_1) | instskip(SKIP_1) | instid1(VALU_DEP_1)
	v_add_f16_e64 v224, v228, v224
	v_mul_f16_e64 v228, 0x388b, v199
	v_fma_f16 v229, 0x3a95, v194, v228
	v_fmac_f16_e64 v228, 0xba95, v194
	s_delay_alu instid0(VALU_DEP_2) | instskip(NEXT) | instid1(VALU_DEP_1)
	v_add_f16_e64 v229, v192, v229
	v_add_f16_e64 v229, v231, v229
	v_mul_f16_e64 v231, 0xbbf1, v197
	s_delay_alu instid0(VALU_DEP_1) | instskip(NEXT) | instid1(VALU_DEP_1)
	v_fma_f16 v232, 0x2fb7, v167, v231
	v_add_f16_e64 v232, v16, v232
	s_delay_alu instid0(VALU_DEP_1) | instskip(SKIP_1) | instid1(VALU_DEP_1)
	v_add_f16_e64 v232, v234, v232
	v_mul_f16_e64 v234, 0x2fb7, v199
	v_fma_f16 v235, 0x3bf1, v194, v234
	v_fmac_f16_e64 v234, 0xbbf1, v194
	s_delay_alu instid0(VALU_DEP_2) | instskip(NEXT) | instid1(VALU_DEP_1)
	v_add_f16_e64 v235, v192, v235
	v_add_f16_e64 v235, v237, v235
	v_mul_f16_e64 v237, 0xb3a8, v216
	s_delay_alu instid0(VALU_DEP_1) | instskip(NEXT) | instid1(VALU_DEP_1)
	v_fma_f16 v238, 0xbbc4, v203, v237
	v_add_f16_e64 v224, v238, v224
	v_mul_f16_e64 v238, 0xbbc4, v215
	s_delay_alu instid0(VALU_DEP_1) | instskip(SKIP_1) | instid1(VALU_DEP_2)
	v_fma_f16 v239, 0x33a8, v204, v238
	v_fmac_f16_e64 v238, 0xb3a8, v204
	v_add_f16_e64 v229, v239, v229
	v_mul_f16_e64 v239, 0x3b7b, v216
	s_delay_alu instid0(VALU_DEP_1) | instskip(NEXT) | instid1(VALU_DEP_1)
	v_fma_f16 v240, 0xb5ac, v203, v239
	v_add_f16_e64 v232, v240, v232
	v_mul_f16_e64 v240, 0xb5ac, v215
	s_delay_alu instid0(VALU_DEP_1) | instskip(SKIP_1) | instid1(VALU_DEP_2)
	v_fma_f16 v241, 0xbb7b, v204, v240
	v_fmac_f16_e64 v240, 0x3b7b, v204
	;; [unrolled: 9-line block ×7, first 2 shown]
	v_add_f16_e64 v229, v251, v229
	v_mul_f16_e64 v251, 0xb94e, v225
	s_delay_alu instid0(VALU_DEP_2) | instskip(NEXT) | instid1(VALU_DEP_2)
	v_pack_b32_f16 v224, v224, v229
	v_fma_f16 v252, 0xb9fd, v217, v251
	s_delay_alu instid0(VALU_DEP_1) | instskip(SKIP_1) | instid1(VALU_DEP_1)
	v_add_f16_e64 v232, v252, v232
	v_mul_f16_e64 v252, 0xb9fd, v226
	v_fma_f16 v253, 0x394e, v218, v252
	v_fmac_f16_e64 v252, 0xb94e, v218
	s_delay_alu instid0(VALU_DEP_2) | instskip(NEXT) | instid1(VALU_DEP_1)
	v_add_f16_e64 v235, v253, v235
	v_pack_b32_f16 v229, v232, v235
	v_mul_f16_e64 v232, 0x394e, v198
	ds_store_2addr_b32 v139, v224, v229 offset0:4 offset1:6
	v_mul_f16_e64 v224, 0xbb7b, v197
	v_fma_f16 v235, 0xb9fd, v190, v232
	s_delay_alu instid0(VALU_DEP_2) | instskip(NEXT) | instid1(VALU_DEP_1)
	v_fma_f16 v229, 0xb5ac, v167, v224
	v_add_f16_e64 v229, v16, v229
	s_delay_alu instid0(VALU_DEP_1) | instskip(SKIP_1) | instid1(VALU_DEP_1)
	v_add_f16_e64 v229, v235, v229
	v_mul_f16_e64 v235, 0xb5ac, v199
	v_fma_f16 v253, 0x3b7b, v194, v235
	v_fmac_f16_e64 v235, 0xbb7b, v194
	s_delay_alu instid0(VALU_DEP_2) | instskip(NEXT) | instid1(VALU_DEP_1)
	v_add_f16_e64 v253, v192, v253
	v_add_f16_e64 v253, v255, v253
	v_mul_f16_e64 v255, 0xb94e, v197
	s_delay_alu instid0(VALU_DEP_1) | instskip(NEXT) | instid1(VALU_DEP_1)
	v_fma_f16 v76, 0xb9fd, v167, v255
	v_add_f16_e32 v76, v16, v76
	s_delay_alu instid0(VALU_DEP_1) | instskip(SKIP_1) | instid1(VALU_DEP_1)
	v_add_f16_e32 v76, v80, v76
	v_mul_f16_e64 v80, 0xb9fd, v199
	v_fma_f16 v82, 0x394e, v194, v80
	v_fmac_f16_e64 v80, 0xb94e, v194
	s_delay_alu instid0(VALU_DEP_2) | instskip(NEXT) | instid1(VALU_DEP_2)
	v_add_f16_e64 v82, v192, v82
	v_add_f16_e64 v80, v192, v80
	s_delay_alu instid0(VALU_DEP_2) | instskip(SKIP_1) | instid1(VALU_DEP_3)
	v_add_f16_e32 v82, v87, v82
	v_mul_f16_e64 v87, 0x3770, v216
	v_add_f16_e32 v80, v84, v80
	s_delay_alu instid0(VALU_DEP_2) | instskip(SKIP_1) | instid1(VALU_DEP_2)
	v_fma_f16 v88, 0x3b15, v203, v87
	v_fma_f16 v84, v203, 0x3b15, -v87
	v_add_f16_e64 v88, v88, v229
	v_mul_f16_e64 v229, 0x3b15, v215
	s_delay_alu instid0(VALU_DEP_1) | instskip(SKIP_1) | instid1(VALU_DEP_2)
	v_fma_f16 v91, 0xb770, v204, v229
	v_fmac_f16_e64 v229, 0x3770, v204
	v_add_f16_e64 v91, v91, v253
	v_mul_f16_e64 v253, 0xba95, v216
	s_delay_alu instid0(VALU_DEP_1) | instskip(NEXT) | instid1(VALU_DEP_1)
	v_fma_f16 v93, 0x388b, v203, v253
	v_add_f16_e32 v76, v93, v76
	v_mul_f16_e64 v93, 0x388b, v215
	s_delay_alu instid0(VALU_DEP_1) | instskip(SKIP_1) | instid1(VALU_DEP_2)
	v_fma_f16 v95, 0x3a95, v204, v93
	v_fmac_f16_e64 v93, 0xba95, v204
	v_add_f16_e32 v82, v95, v82
	v_mul_f16_e64 v95, 0xbbf1, v212
	s_delay_alu instid0(VALU_DEP_3) | instskip(NEXT) | instid1(VALU_DEP_2)
	v_add_f16_e32 v80, v93, v80
	v_fma_f16 v97, 0x2fb7, v201, v95
	s_delay_alu instid0(VALU_DEP_1) | instskip(SKIP_1) | instid1(VALU_DEP_1)
	v_add_f16_e32 v88, v97, v88
	v_mul_f16_e64 v97, 0x2fb7, v214
	v_fma_f16 v99, 0x3bf1, v202, v97
	v_fmac_f16_e64 v97, 0xbbf1, v202
	s_delay_alu instid0(VALU_DEP_2) | instskip(SKIP_1) | instid1(VALU_DEP_1)
	v_add_f16_e32 v91, v99, v91
	v_mul_f16_e64 v99, 0x33a8, v212
	v_fma_f16 v101, 0xbbc4, v201, v99
	s_delay_alu instid0(VALU_DEP_1) | instskip(SKIP_1) | instid1(VALU_DEP_1)
	v_add_f16_e32 v76, v101, v76
	v_mul_f16_e64 v101, 0xbbc4, v214
	v_fma_f16 v102, 0xb3a8, v202, v101
	v_fmac_f16_e64 v101, 0x33a8, v202
	s_delay_alu instid0(VALU_DEP_2) | instskip(SKIP_1) | instid1(VALU_DEP_3)
	v_add_f16_e32 v82, v102, v82
	v_mul_f16_e64 v102, 0x33a8, v221
	v_add_f16_e32 v80, v101, v80
	v_sub_f16_e64 v101, v136, v164
	s_delay_alu instid0(VALU_DEP_3) | instskip(NEXT) | instid1(VALU_DEP_1)
	v_fma_f16 v104, 0xbbc4, v209, v102
	v_add_f16_e32 v88, v104, v88
	v_mul_f16_e64 v104, 0xbbc4, v222
	s_delay_alu instid0(VALU_DEP_1) | instskip(SKIP_1) | instid1(VALU_DEP_2)
	v_fma_f16 v106, 0xb3a8, v210, v104
	v_fmac_f16_e64 v104, 0x33a8, v210
	v_add_f16_e32 v91, v106, v91
	v_mul_f16_e64 v106, 0x3770, v221
	s_delay_alu instid0(VALU_DEP_1) | instskip(NEXT) | instid1(VALU_DEP_1)
	v_fma_f16 v108, 0x3b15, v209, v106
	v_add_f16_e32 v76, v108, v76
	v_mul_f16_e64 v108, 0x3b15, v222
	s_delay_alu instid0(VALU_DEP_1) | instskip(SKIP_1) | instid1(VALU_DEP_2)
	v_fma_f16 v110, 0xb770, v210, v108
	v_fmac_f16_e64 v108, 0x3770, v210
	v_add_f16_e32 v82, v110, v82
	v_mul_f16_e64 v110, 0x3a95, v225
	s_delay_alu instid0(VALU_DEP_3) | instskip(SKIP_1) | instid1(VALU_DEP_3)
	v_add_f16_e32 v80, v108, v80
	v_sub_f16_e64 v108, v173, v160
	v_fma_f16 v113, 0x388b, v217, v110
	s_delay_alu instid0(VALU_DEP_1) | instskip(SKIP_1) | instid1(VALU_DEP_1)
	v_add_f16_e32 v88, v113, v88
	v_mul_f16_e64 v113, 0x388b, v226
	v_fma_f16 v114, 0xba95, v218, v113
	v_fmac_f16_e64 v113, 0x3a95, v218
	s_delay_alu instid0(VALU_DEP_2) | instskip(SKIP_1) | instid1(VALU_DEP_2)
	v_add_f16_e32 v91, v114, v91
	v_mul_f16_e64 v114, 0xbb7b, v225
	v_pack_b32_f16 v88, v88, v91
	s_delay_alu instid0(VALU_DEP_2) | instskip(NEXT) | instid1(VALU_DEP_1)
	v_fma_f16 v116, 0xb5ac, v217, v114
	v_add_f16_e32 v76, v116, v76
	v_mul_f16_e64 v116, 0xb5ac, v226
	s_delay_alu instid0(VALU_DEP_1) | instskip(SKIP_1) | instid1(VALU_DEP_2)
	v_fma_f16 v120, 0x3b7b, v218, v116
	v_fmac_f16_e64 v116, 0xbb7b, v218
	v_add_f16_e32 v82, v120, v82
	v_mul_f16_e64 v120, 0x3b15, v200
	s_delay_alu instid0(VALU_DEP_3) | instskip(NEXT) | instid1(VALU_DEP_3)
	v_add_f16_e32 v80, v116, v80
	v_pack_b32_f16 v76, v76, v82
	v_mul_f16_e64 v82, 0x3770, v198
	s_delay_alu instid0(VALU_DEP_4)
	v_fma_f16 v198, 0xb770, v196, v120
	v_fmac_f16_e64 v120, 0x3770, v196
	ds_store_2addr_b32 v139, v88, v76 offset0:8 offset1:10
	v_mul_f16_e64 v76, 0xb3a8, v197
	v_fma_f16 v91, 0x3b15, v190, v82
	v_fma_f16 v82, v190, 0x3b15, -v82
	s_delay_alu instid0(VALU_DEP_3) | instskip(SKIP_1) | instid1(VALU_DEP_2)
	v_fma_f16 v88, 0xbbc4, v167, v76
	v_fma_f16 v76, v167, 0xbbc4, -v76
	v_add_f16_e32 v88, v16, v88
	s_delay_alu instid0(VALU_DEP_2) | instskip(NEXT) | instid1(VALU_DEP_2)
	v_add_f16_e32 v76, v16, v76
	v_add_f16_e32 v88, v91, v88
	v_mul_f16_e64 v91, 0xbbc4, v199
	s_delay_alu instid0(VALU_DEP_3) | instskip(NEXT) | instid1(VALU_DEP_2)
	v_add_f16_e32 v76, v82, v76
	v_fma_f16 v197, 0x33a8, v194, v91
	v_fmac_f16_e64 v91, 0xb3a8, v194
	s_delay_alu instid0(VALU_DEP_2) | instskip(NEXT) | instid1(VALU_DEP_2)
	v_add_f16_e64 v197, v192, v197
	v_add_f16_e64 v82, v192, v91
	v_mul_f16_e64 v91, 0xb94e, v216
	s_delay_alu instid0(VALU_DEP_3) | instskip(NEXT) | instid1(VALU_DEP_3)
	v_add_f16_e64 v197, v198, v197
	v_add_f16_e32 v82, v120, v82
	s_delay_alu instid0(VALU_DEP_3) | instskip(SKIP_1) | instid1(VALU_DEP_2)
	v_fma_f16 v120, 0xb9fd, v203, v91
	v_fma_f16 v91, v203, 0xb9fd, -v91
	v_add_f16_e32 v88, v120, v88
	v_mul_f16_e64 v120, 0xb9fd, v215
	s_delay_alu instid0(VALU_DEP_3) | instskip(SKIP_1) | instid1(VALU_DEP_3)
	v_add_f16_e32 v76, v91, v76
	v_mul_f16_e64 v91, 0x3a95, v212
	v_fma_f16 v198, 0x394e, v204, v120
	v_fmac_f16_e64 v120, 0xb94e, v204
	s_delay_alu instid0(VALU_DEP_2) | instskip(NEXT) | instid1(VALU_DEP_2)
	v_add_f16_e64 v197, v198, v197
	v_add_f16_e32 v82, v120, v82
	v_fma_f16 v120, 0x388b, v201, v91
	v_fma_f16 v91, v201, 0x388b, -v91
	s_delay_alu instid0(VALU_DEP_2) | instskip(SKIP_1) | instid1(VALU_DEP_3)
	v_add_f16_e32 v88, v120, v88
	v_mul_f16_e64 v120, 0x388b, v214
	v_add_f16_e32 v76, v91, v76
	v_mul_f16_e64 v91, 0xbb7b, v221
	s_delay_alu instid0(VALU_DEP_3) | instskip(SKIP_1) | instid1(VALU_DEP_2)
	v_fma_f16 v198, 0xba95, v202, v120
	v_fmac_f16_e64 v120, 0x3a95, v202
	v_add_f16_e64 v197, v198, v197
	s_delay_alu instid0(VALU_DEP_2) | instskip(SKIP_2) | instid1(VALU_DEP_2)
	v_add_f16_e32 v82, v120, v82
	v_fma_f16 v120, 0xb5ac, v209, v91
	v_fma_f16 v91, v209, 0xb5ac, -v91
	v_add_f16_e32 v88, v120, v88
	v_mul_f16_e64 v120, 0xb5ac, v222
	s_delay_alu instid0(VALU_DEP_3) | instskip(SKIP_1) | instid1(VALU_DEP_3)
	v_add_f16_e32 v76, v91, v76
	v_mul_f16_e64 v91, 0x3bf1, v225
	v_fma_f16 v198, 0x3b7b, v210, v120
	v_fmac_f16_e64 v120, 0xbb7b, v210
	s_delay_alu instid0(VALU_DEP_2) | instskip(NEXT) | instid1(VALU_DEP_2)
	v_add_f16_e64 v197, v198, v197
	v_add_f16_e32 v82, v120, v82
	v_fma_f16 v120, 0x2fb7, v217, v91
	v_fma_f16 v91, v217, 0x2fb7, -v91
	s_delay_alu instid0(VALU_DEP_2) | instskip(SKIP_1) | instid1(VALU_DEP_3)
	v_add_f16_e32 v88, v120, v88
	v_mul_f16_e64 v120, 0x2fb7, v226
	v_add_f16_e32 v76, v91, v76
	s_delay_alu instid0(VALU_DEP_2) | instskip(SKIP_1) | instid1(VALU_DEP_2)
	v_fma_f16 v198, 0xbbf1, v218, v120
	v_fmac_f16_e64 v120, 0x3bf1, v218
	v_add_f16_e64 v197, v198, v197
	s_delay_alu instid0(VALU_DEP_2) | instskip(NEXT) | instid1(VALU_DEP_2)
	v_add_f16_e32 v82, v120, v82
	v_pack_b32_f16 v88, v88, v197
	s_delay_alu instid0(VALU_DEP_2) | instskip(SKIP_4) | instid1(VALU_DEP_2)
	v_pack_b32_f16 v76, v76, v82
	v_fma_f16 v82, v190, 0xb9fd, -v232
	ds_store_2addr_b32 v139, v88, v76 offset0:12 offset1:14
	v_fma_f16 v76, v167, 0xb5ac, -v224
	v_fma_f16 v88, v167, 0xb9fd, -v255
	v_add_f16_e32 v76, v16, v76
	s_delay_alu instid0(VALU_DEP_2) | instskip(NEXT) | instid1(VALU_DEP_2)
	v_add_f16_e32 v88, v16, v88
	v_add_f16_e32 v76, v82, v76
	s_delay_alu instid0(VALU_DEP_2) | instskip(SKIP_1) | instid1(VALU_DEP_3)
	v_add_f16_e32 v78, v78, v88
	v_add_f16_e64 v82, v192, v235
	v_add_f16_e32 v76, v84, v76
	v_fma_f16 v84, v203, 0x388b, -v253
	s_delay_alu instid0(VALU_DEP_3) | instskip(NEXT) | instid1(VALU_DEP_2)
	v_add_f16_e64 v82, v254, v82
	v_add_f16_e32 v78, v84, v78
	v_fma_f16 v84, v201, 0x2fb7, -v95
	s_delay_alu instid0(VALU_DEP_3) | instskip(NEXT) | instid1(VALU_DEP_2)
	v_add_f16_e64 v82, v229, v82
	v_add_f16_e32 v76, v84, v76
	v_fma_f16 v84, v201, 0xbbc4, -v99
	s_delay_alu instid0(VALU_DEP_3) | instskip(NEXT) | instid1(VALU_DEP_2)
	v_add_f16_e32 v82, v97, v82
	v_add_f16_e32 v78, v84, v78
	v_fma_f16 v84, v209, 0xbbc4, -v102
	s_delay_alu instid0(VALU_DEP_3) | instskip(SKIP_1) | instid1(VALU_DEP_3)
	v_add_f16_e32 v82, v104, v82
	v_add_f16_e64 v104, v188, v19
	v_add_f16_e32 v76, v84, v76
	v_fma_f16 v84, v209, 0x3b15, -v106
	s_delay_alu instid0(VALU_DEP_4) | instskip(SKIP_1) | instid1(VALU_DEP_3)
	v_add_f16_e32 v82, v113, v82
	v_add_f16_e64 v106, v173, v160
	v_add_f16_e32 v78, v84, v78
	v_fma_f16 v84, v217, 0x388b, -v110
	s_delay_alu instid0(VALU_DEP_1) | instskip(SKIP_1) | instid1(VALU_DEP_2)
	v_add_f16_e32 v76, v84, v76
	v_fma_f16 v84, v217, 0xb5ac, -v114
	v_pack_b32_f16 v76, v76, v82
	s_delay_alu instid0(VALU_DEP_2) | instskip(SKIP_2) | instid1(VALU_DEP_3)
	v_add_f16_e32 v78, v84, v78
	v_fma_f16 v82, v190, 0xbbc4, -v233
	v_fma_f16 v84, v203, 0xbbc4, -v237
	v_pack_b32_f16 v78, v78, v80
	v_fma_f16 v80, v167, 0x2fb7, -v231
	ds_store_2addr_b32 v139, v78, v76 offset0:16 offset1:18
	v_fma_f16 v76, v167, 0x388b, -v223
	v_fma_f16 v78, v190, 0xb5ac, -v227
	v_add_f16_e32 v80, v16, v80
	s_delay_alu instid0(VALU_DEP_3) | instskip(NEXT) | instid1(VALU_DEP_2)
	v_add_f16_e32 v76, v16, v76
	v_add_f16_e32 v80, v82, v80
	v_add_f16_e64 v82, v192, v234
	s_delay_alu instid0(VALU_DEP_3) | instskip(SKIP_1) | instid1(VALU_DEP_3)
	v_add_f16_e32 v76, v78, v76
	v_add_f16_e64 v78, v192, v228
	v_add_f16_e64 v82, v236, v82
	s_delay_alu instid0(VALU_DEP_3) | instskip(SKIP_1) | instid1(VALU_DEP_4)
	v_add_f16_e32 v76, v84, v76
	v_fma_f16 v84, v203, 0xb5ac, -v239
	v_add_f16_e64 v78, v230, v78
	s_delay_alu instid0(VALU_DEP_4) | instskip(NEXT) | instid1(VALU_DEP_3)
	v_add_f16_e64 v82, v240, v82
	v_add_f16_e32 v80, v84, v80
	v_fma_f16 v84, v201, 0xb9fd, -v241
	s_delay_alu instid0(VALU_DEP_4) | instskip(NEXT) | instid1(VALU_DEP_4)
	v_add_f16_e64 v78, v238, v78
	v_add_f16_e64 v82, v244, v82
	s_delay_alu instid0(VALU_DEP_3) | instskip(SKIP_1) | instid1(VALU_DEP_4)
	v_add_f16_e32 v76, v84, v76
	v_fma_f16 v84, v201, 0x3b15, -v243
	v_add_f16_e64 v78, v242, v78
	s_delay_alu instid0(VALU_DEP_4) | instskip(NEXT) | instid1(VALU_DEP_3)
	v_add_f16_e64 v82, v248, v82
	v_add_f16_e32 v80, v84, v80
	v_fma_f16 v84, v209, 0x2fb7, -v245
	s_delay_alu instid0(VALU_DEP_4) | instskip(NEXT) | instid1(VALU_DEP_4)
	v_add_f16_e64 v78, v246, v78
	v_add_f16_e64 v82, v252, v82
	s_delay_alu instid0(VALU_DEP_3) | instskip(SKIP_1) | instid1(VALU_DEP_4)
	v_add_f16_e32 v76, v84, v76
	v_fma_f16 v84, v209, 0x388b, -v247
	v_add_f16_e64 v78, v250, v78
	s_delay_alu instid0(VALU_DEP_2) | instskip(SKIP_1) | instid1(VALU_DEP_1)
	v_add_f16_e32 v80, v84, v80
	v_fma_f16 v84, v217, 0x3b15, -v249
	v_add_f16_e32 v76, v84, v76
	v_fma_f16 v84, v217, 0xb9fd, -v251
	s_delay_alu instid0(VALU_DEP_2) | instskip(NEXT) | instid1(VALU_DEP_2)
	v_pack_b32_f16 v76, v76, v78
	v_add_f16_e32 v80, v84, v80
	v_add_f16_e64 v78, v192, v195
	s_delay_alu instid0(VALU_DEP_2) | instskip(SKIP_3) | instid1(VALU_DEP_2)
	v_pack_b32_f16 v80, v80, v82
	ds_store_2addr_b32 v139, v80, v76 offset0:20 offset1:22
	v_fma_f16 v76, v167, 0x3b15, -v189
	v_fma_f16 v80, v190, 0x388b, -v191
	v_add_f16_e32 v16, v16, v76
	v_add_f16_e64 v76, v193, v78
	v_fma_f16 v78, v203, 0x2fb7, -v205
	s_delay_alu instid0(VALU_DEP_3) | instskip(NEXT) | instid1(VALU_DEP_3)
	v_add_f16_e32 v16, v80, v16
	v_add_f16_e64 v76, v206, v76
	s_delay_alu instid0(VALU_DEP_2) | instskip(SKIP_1) | instid1(VALU_DEP_3)
	v_add_f16_e32 v16, v78, v16
	v_fma_f16 v78, v201, 0xb5ac, -v207
	v_add_f16_e64 v76, v208, v76
	s_delay_alu instid0(VALU_DEP_2) | instskip(SKIP_1) | instid1(VALU_DEP_3)
	v_add_f16_e32 v16, v78, v16
	v_fma_f16 v78, v209, 0xb9fd, -v211
	;; [unrolled: 4-line block ×3, first 2 shown]
	v_add_f16_e64 v76, v220, v76
	s_delay_alu instid0(VALU_DEP_2) | instskip(NEXT) | instid1(VALU_DEP_1)
	v_add_f16_e32 v16, v78, v16
	v_pack_b32_f16 v16, v16, v76
	v_add_f16_e64 v76, v136, v164
	ds_store_b32 v139, v16 offset:96
	v_sub_f16_e64 v16, v188, v19
	v_add_f16_e64 v139, v170, v161
	s_delay_alu instid0(VALU_DEP_2)
	v_mul_f16_e32 v78, 0xb770, v16
	v_mul_f16_e32 v82, 0xba95, v16
	;; [unrolled: 1-line block ×6, first 2 shown]
	v_fmamk_f16 v80, v76, 0x3b15, v78
	v_fma_f16 v78, v76, 0x3b15, -v78
	v_fmamk_f16 v84, v76, 0x388b, v82
	v_fma_f16 v82, v76, 0x388b, -v82
	;; [unrolled: 2-line block ×6, first 2 shown]
	v_add_f16_e32 v76, v17, v80
	v_add_f16_e32 v78, v17, v78
	;; [unrolled: 1-line block ×12, first 2 shown]
	v_add_f16_e64 v99, v17, v136
	v_lshrrev_b32_e32 v17, 16, v17
	v_add_f16_e64 v136, v168, v159
	s_delay_alu instid0(VALU_DEP_3) | instskip(NEXT) | instid1(VALU_DEP_3)
	v_add_f16_e64 v99, v99, v173
	v_add_f16_e64 v102, v17, v188
	s_delay_alu instid0(VALU_DEP_2) | instskip(NEXT) | instid1(VALU_DEP_2)
	v_add_f16_e64 v99, v99, v170
	v_add_f16_e64 v102, v102, v169
	s_delay_alu instid0(VALU_DEP_2) | instskip(NEXT) | instid1(VALU_DEP_2)
	;; [unrolled: 3-line block ×3, first 2 shown]
	v_add_f16_e32 v99, v99, v25
	v_add_f16_e32 v102, v102, v26
	s_delay_alu instid0(VALU_DEP_2) | instskip(NEXT) | instid1(VALU_DEP_2)
	v_add_f16_e32 v99, v99, v24
	v_add_f16_e64 v102, v102, v162
	s_delay_alu instid0(VALU_DEP_2) | instskip(NEXT) | instid1(VALU_DEP_2)
	v_add_f16_e32 v99, v99, v27
	v_add_f16_e32 v102, v102, v20
	s_delay_alu instid0(VALU_DEP_2) | instskip(NEXT) | instid1(VALU_DEP_2)
	v_add_f16_e64 v99, v99, v163
	v_add_f16_e32 v102, v102, v21
	s_delay_alu instid0(VALU_DEP_2) | instskip(NEXT) | instid1(VALU_DEP_2)
	v_add_f16_e32 v99, v99, v23
	v_add_f16_e32 v102, v102, v22
	s_delay_alu instid0(VALU_DEP_2) | instskip(NEXT) | instid1(VALU_DEP_2)
	v_add_f16_e64 v99, v99, v161
	v_add_f16_e64 v102, v102, v156
	s_delay_alu instid0(VALU_DEP_2) | instskip(NEXT) | instid1(VALU_DEP_2)
	v_add_f16_e64 v99, v99, v160
	v_add_f16_e64 v102, v102, v159
	s_delay_alu instid0(VALU_DEP_2) | instskip(NEXT) | instid1(VALU_DEP_2)
	v_add_f16_e64 v99, v99, v164
	v_add_f16_e32 v102, v102, v18
	s_delay_alu instid0(VALU_DEP_1) | instskip(SKIP_2) | instid1(VALU_DEP_3)
	v_add_f16_e32 v19, v102, v19
	v_sub_f16_e64 v102, v169, v18
	v_add_f16_e64 v18, v169, v18
	v_pack_b32_f16 v19, v99, v19
	s_delay_alu instid0(VALU_DEP_3) | instskip(NEXT) | instid1(VALU_DEP_3)
	v_mul_f16_e32 v110, 0xba95, v102
	v_mul_f16_e32 v116, 0x388b, v18
	v_mul_f16_e64 v191, 0xbbc4, v18
	v_mul_f16_e64 v211, 0x2fb7, v18
	s_delay_alu instid0(VALU_DEP_4) | instskip(NEXT) | instid1(VALU_DEP_4)
	v_fmamk_f16 v113, v106, 0x388b, v110
	v_fmamk_f16 v120, v108, 0x3a95, v116
	s_delay_alu instid0(VALU_DEP_4) | instskip(NEXT) | instid1(VALU_DEP_4)
	v_fma_f16 v192, 0x33a8, v108, v191
	v_fma_f16 v212, 0xbbf1, v108, v211
	v_fmac_f16_e64 v211, 0x3bf1, v108
	v_add_f16_e32 v76, v113, v76
	v_mul_f16_e32 v113, 0x3b15, v104
	v_fmac_f16_e64 v191, 0xb3a8, v108
	v_fmac_f16_e32 v116, 0xba95, v108
	s_delay_alu instid0(VALU_DEP_3) | instskip(SKIP_1) | instid1(VALU_DEP_2)
	v_fmamk_f16 v114, v101, 0x3770, v113
	v_fmac_f16_e32 v113, 0xb770, v101
	v_add_f16_e32 v114, v17, v114
	s_delay_alu instid0(VALU_DEP_1) | instskip(SKIP_2) | instid1(VALU_DEP_2)
	v_add_f16_e32 v114, v120, v114
	v_sub_f16_e64 v120, v168, v159
	v_sub_f16_e64 v159, v170, v161
	v_mul_f16_e64 v160, 0xbbf1, v120
	s_delay_alu instid0(VALU_DEP_1) | instskip(NEXT) | instid1(VALU_DEP_1)
	v_fma_f16 v161, 0x2fb7, v139, v160
	v_add_f16_e64 v76, v161, v76
	v_mul_f16_e64 v161, 0x2fb7, v136
	s_delay_alu instid0(VALU_DEP_1) | instskip(SKIP_1) | instid1(VALU_DEP_2)
	v_fma_f16 v164, 0x3bf1, v159, v161
	v_fmac_f16_e64 v161, 0xbbf1, v159
	v_add_f16_e64 v114, v164, v114
	v_sub_f16_e64 v164, v26, v156
	v_add_f16_e64 v26, v26, v156
	v_add_f16_e64 v156, v137, v23
	v_sub_f16_e64 v23, v137, v23
	s_delay_alu instid0(VALU_DEP_4) | instskip(NEXT) | instid1(VALU_DEP_1)
	v_mul_f16_e64 v137, 0xbb7b, v164
	v_fma_f16 v167, 0xb5ac, v156, v137
	s_delay_alu instid0(VALU_DEP_1) | instskip(SKIP_1) | instid1(VALU_DEP_1)
	v_add_f16_e64 v76, v167, v76
	v_mul_f16_e64 v167, 0xb5ac, v26
	v_fma_f16 v168, 0x3b7b, v23, v167
	v_fmac_f16_e64 v167, 0xbb7b, v23
	s_delay_alu instid0(VALU_DEP_2) | instskip(SKIP_4) | instid1(VALU_DEP_4)
	v_add_f16_e64 v114, v168, v114
	v_sub_f16_e64 v168, v162, v22
	v_add_f16_e64 v22, v162, v22
	v_add_f16_e64 v162, v25, v163
	v_sub_f16_e64 v25, v25, v163
	v_mul_f16_e64 v163, 0xb94e, v168
	s_delay_alu instid0(VALU_DEP_1) | instskip(NEXT) | instid1(VALU_DEP_1)
	v_fma_f16 v169, 0xb9fd, v162, v163
	v_add_f16_e64 v76, v169, v76
	v_mul_f16_e64 v169, 0xb9fd, v22
	s_delay_alu instid0(VALU_DEP_1) | instskip(SKIP_1) | instid1(VALU_DEP_2)
	v_fma_f16 v170, 0x394e, v25, v169
	v_fmac_f16_e64 v169, 0xb94e, v25
	v_add_f16_e64 v114, v170, v114
	v_sub_f16_e64 v170, v20, v21
	v_add_f16_e32 v20, v20, v21
	v_add_f16_e32 v21, v24, v27
	v_sub_f16_e32 v24, v24, v27
	s_delay_alu instid0(VALU_DEP_4) | instskip(NEXT) | instid1(VALU_DEP_1)
	v_mul_f16_e64 v27, 0xb3a8, v170
	v_fma_f16 v173, 0xbbc4, v21, v27
	s_delay_alu instid0(VALU_DEP_1) | instskip(SKIP_1) | instid1(VALU_DEP_1)
	v_add_f16_e64 v76, v173, v76
	v_mul_f16_e64 v173, 0xbbc4, v20
	v_fma_f16 v188, 0x33a8, v24, v173
	v_fmac_f16_e64 v173, 0xb3a8, v24
	s_delay_alu instid0(VALU_DEP_2) | instskip(NEXT) | instid1(VALU_DEP_1)
	v_add_f16_e64 v114, v188, v114
	v_pack_b32_f16 v76, v76, v114
	v_mul_f16_e32 v114, 0xb5ac, v18
	ds_store_2addr_b32 v130, v19, v76 offset1:2
	v_mul_f16_e32 v19, 0xbb7b, v102
	v_fma_f16 v188, 0x3b7b, v108, v114
	v_fmac_f16_e32 v114, 0xbb7b, v108
	s_delay_alu instid0(VALU_DEP_3) | instskip(NEXT) | instid1(VALU_DEP_1)
	v_fmamk_f16 v76, v106, 0xb5ac, v19
	v_add_f16_e32 v76, v76, v80
	v_mul_f16_e32 v80, 0x388b, v104
	s_delay_alu instid0(VALU_DEP_1) | instskip(SKIP_1) | instid1(VALU_DEP_2)
	v_fmamk_f16 v99, v101, 0x3a95, v80
	v_fmac_f16_e32 v80, 0xba95, v101
	v_add_f16_e32 v99, v17, v99
	s_delay_alu instid0(VALU_DEP_1) | instskip(SKIP_1) | instid1(VALU_DEP_1)
	v_add_f16_e64 v99, v188, v99
	v_mul_f16_e64 v188, 0xb3a8, v102
	v_fma_f16 v189, 0xbbc4, v106, v188
	s_delay_alu instid0(VALU_DEP_1) | instskip(SKIP_1) | instid1(VALU_DEP_1)
	v_add_f16_e64 v84, v189, v84
	v_mul_f16_e64 v189, 0x2fb7, v104
	v_fma_f16 v190, 0x3bf1, v101, v189
	v_fmac_f16_e64 v189, 0xbbf1, v101
	s_delay_alu instid0(VALU_DEP_2) | instskip(NEXT) | instid1(VALU_DEP_1)
	v_add_f16_e64 v190, v17, v190
	v_add_f16_e64 v190, v192, v190
	v_mul_f16_e64 v192, 0xb3a8, v120
	s_delay_alu instid0(VALU_DEP_1) | instskip(NEXT) | instid1(VALU_DEP_1)
	v_fma_f16 v193, 0xbbc4, v139, v192
	v_add_f16_e64 v76, v193, v76
	v_mul_f16_e64 v193, 0xbbc4, v136
	s_delay_alu instid0(VALU_DEP_1) | instskip(SKIP_1) | instid1(VALU_DEP_2)
	v_fma_f16 v194, 0x33a8, v159, v193
	v_fmac_f16_e64 v193, 0xb3a8, v159
	v_add_f16_e64 v99, v194, v99
	v_mul_f16_e64 v194, 0x3b7b, v120
	s_delay_alu instid0(VALU_DEP_1) | instskip(NEXT) | instid1(VALU_DEP_1)
	v_fma_f16 v195, 0xb5ac, v139, v194
	v_add_f16_e64 v84, v195, v84
	v_mul_f16_e64 v195, 0xb5ac, v136
	s_delay_alu instid0(VALU_DEP_1) | instskip(SKIP_1) | instid1(VALU_DEP_2)
	v_fma_f16 v196, 0xbb7b, v159, v195
	v_fmac_f16_e64 v195, 0x3b7b, v159
	;; [unrolled: 9-line block ×7, first 2 shown]
	v_add_f16_e64 v99, v206, v99
	v_mul_f16_e64 v206, 0xb94e, v170
	s_delay_alu instid0(VALU_DEP_2) | instskip(NEXT) | instid1(VALU_DEP_2)
	v_pack_b32_f16 v76, v76, v99
	v_fma_f16 v207, 0xb9fd, v21, v206
	s_delay_alu instid0(VALU_DEP_1) | instskip(SKIP_1) | instid1(VALU_DEP_1)
	v_add_f16_e64 v84, v207, v84
	v_mul_f16_e64 v207, 0xb9fd, v20
	v_fma_f16 v208, 0x394e, v24, v207
	v_fmac_f16_e64 v207, 0xb94e, v24
	s_delay_alu instid0(VALU_DEP_2) | instskip(NEXT) | instid1(VALU_DEP_1)
	v_add_f16_e64 v190, v208, v190
	v_pack_b32_f16 v84, v84, v190
	v_mul_f16_e64 v190, 0xb9fd, v18
	v_mul_f16_e32 v18, 0x3b15, v18
	ds_store_2addr_b32 v130, v76, v84 offset0:4 offset1:6
	v_mul_f16_e32 v76, 0x394e, v102
	v_fma_f16 v208, 0xb94e, v108, v190
	v_fmac_f16_e64 v190, 0x394e, v108
	s_delay_alu instid0(VALU_DEP_3) | instskip(NEXT) | instid1(VALU_DEP_1)
	v_fmamk_f16 v84, v106, 0xb9fd, v76
	v_add_f16_e32 v84, v84, v88
	v_mul_f16_e32 v88, 0xb5ac, v104
	s_delay_alu instid0(VALU_DEP_1) | instskip(SKIP_1) | instid1(VALU_DEP_2)
	v_fmamk_f16 v99, v101, 0x3b7b, v88
	v_fmac_f16_e32 v88, 0xbb7b, v101
	v_add_f16_e32 v99, v17, v99
	s_delay_alu instid0(VALU_DEP_1) | instskip(SKIP_1) | instid1(VALU_DEP_1)
	v_add_f16_e64 v99, v208, v99
	v_mul_f16_e64 v208, 0x3bf1, v102
	v_fma_f16 v209, 0x2fb7, v106, v208
	s_delay_alu instid0(VALU_DEP_1) | instskip(SKIP_1) | instid1(VALU_DEP_1)
	v_add_f16_e64 v95, v209, v95
	v_mul_f16_e64 v209, 0xb9fd, v104
	v_fma_f16 v210, 0x394e, v101, v209
	v_fmac_f16_e64 v209, 0xb94e, v101
	s_delay_alu instid0(VALU_DEP_2) | instskip(NEXT) | instid1(VALU_DEP_1)
	v_add_f16_e64 v210, v17, v210
	v_add_f16_e64 v210, v212, v210
	v_mul_f16_e64 v212, 0x3770, v120
	s_delay_alu instid0(VALU_DEP_1) | instskip(NEXT) | instid1(VALU_DEP_1)
	v_fma_f16 v213, 0x3b15, v139, v212
	v_add_f16_e64 v84, v213, v84
	v_mul_f16_e64 v213, 0x3b15, v136
	s_delay_alu instid0(VALU_DEP_1) | instskip(SKIP_1) | instid1(VALU_DEP_2)
	v_fma_f16 v214, 0xb770, v159, v213
	v_fmac_f16_e64 v213, 0x3770, v159
	v_add_f16_e64 v99, v214, v99
	v_mul_f16_e64 v214, 0xba95, v120
	s_delay_alu instid0(VALU_DEP_1) | instskip(NEXT) | instid1(VALU_DEP_1)
	v_fma_f16 v215, 0x388b, v139, v214
	v_add_f16_e64 v95, v215, v95
	v_mul_f16_e64 v215, 0x388b, v136
	s_delay_alu instid0(VALU_DEP_1) | instskip(SKIP_1) | instid1(VALU_DEP_2)
	v_fma_f16 v216, 0x3a95, v159, v215
	v_fmac_f16_e64 v215, 0xba95, v159
	;; [unrolled: 9-line block ×3, first 2 shown]
	v_add_f16_e64 v99, v218, v99
	v_mul_f16_e64 v218, 0x33a8, v164
	s_delay_alu instid0(VALU_DEP_1) | instskip(NEXT) | instid1(VALU_DEP_1)
	v_fma_f16 v219, 0xbbc4, v156, v218
	v_add_f16_e64 v95, v219, v95
	v_mul_f16_e64 v219, 0xbbc4, v26
	v_mul_f16_e32 v26, 0x388b, v26
	s_delay_alu instid0(VALU_DEP_2) | instskip(SKIP_1) | instid1(VALU_DEP_2)
	v_fma_f16 v220, 0xb3a8, v23, v219
	v_fmac_f16_e64 v219, 0x33a8, v23
	v_add_f16_e64 v210, v220, v210
	v_mul_f16_e64 v220, 0x33a8, v168
	s_delay_alu instid0(VALU_DEP_1) | instskip(NEXT) | instid1(VALU_DEP_1)
	v_fma_f16 v221, 0xbbc4, v162, v220
	v_add_f16_e64 v84, v221, v84
	v_mul_f16_e64 v221, 0xbbc4, v22
	s_delay_alu instid0(VALU_DEP_1) | instskip(SKIP_1) | instid1(VALU_DEP_2)
	v_fma_f16 v222, 0xb3a8, v25, v221
	v_fmac_f16_e64 v221, 0x33a8, v25
	v_add_f16_e64 v99, v222, v99
	v_mul_f16_e64 v222, 0x3770, v168
	s_delay_alu instid0(VALU_DEP_1) | instskip(NEXT) | instid1(VALU_DEP_1)
	v_fma_f16 v223, 0x3b15, v162, v222
	v_add_f16_e64 v95, v223, v95
	v_mul_f16_e64 v223, 0x3b15, v22
	v_mul_f16_e32 v22, 0xb5ac, v22
	s_delay_alu instid0(VALU_DEP_2) | instskip(SKIP_1) | instid1(VALU_DEP_2)
	v_fma_f16 v224, 0xb770, v25, v223
	v_fmac_f16_e64 v223, 0x3770, v25
	v_add_f16_e64 v210, v224, v210
	v_mul_f16_e64 v224, 0x3a95, v170
	s_delay_alu instid0(VALU_DEP_1) | instskip(NEXT) | instid1(VALU_DEP_1)
	v_fma_f16 v225, 0x388b, v21, v224
	v_add_f16_e64 v84, v225, v84
	v_mul_f16_e64 v225, 0x388b, v20
	s_delay_alu instid0(VALU_DEP_1) | instskip(SKIP_1) | instid1(VALU_DEP_2)
	v_fma_f16 v226, 0xba95, v24, v225
	v_fmac_f16_e64 v225, 0x3a95, v24
	v_add_f16_e64 v99, v226, v99
	v_mul_f16_e64 v226, 0xbb7b, v170
	s_delay_alu instid0(VALU_DEP_2) | instskip(NEXT) | instid1(VALU_DEP_2)
	v_pack_b32_f16 v84, v84, v99
	v_fma_f16 v227, 0xb5ac, v21, v226
	s_delay_alu instid0(VALU_DEP_1) | instskip(SKIP_2) | instid1(VALU_DEP_2)
	v_add_f16_e64 v95, v227, v95
	v_mul_f16_e64 v227, 0xb5ac, v20
	v_mul_f16_e32 v20, 0x2fb7, v20
	v_fma_f16 v228, 0x3b7b, v24, v227
	v_fmac_f16_e64 v227, 0xbb7b, v24
	s_delay_alu instid0(VALU_DEP_2) | instskip(NEXT) | instid1(VALU_DEP_1)
	v_add_f16_e64 v210, v228, v210
	v_pack_b32_f16 v95, v95, v210
	ds_store_2addr_b32 v130, v84, v95 offset0:8 offset1:10
	v_mul_f16_e32 v84, 0x3770, v102
	v_fmamk_f16 v102, v108, 0xb770, v18
	v_fmac_f16_e32 v18, 0x3770, v108
	s_delay_alu instid0(VALU_DEP_3) | instskip(SKIP_1) | instid1(VALU_DEP_2)
	v_fmamk_f16 v95, v106, 0x3b15, v84
	v_fma_f16 v84, v106, 0x3b15, -v84
	v_add_f16_e32 v95, v95, v97
	v_mul_f16_e32 v97, 0xbbc4, v104
	s_delay_alu instid0(VALU_DEP_3) | instskip(NEXT) | instid1(VALU_DEP_2)
	v_add_f16_e32 v16, v84, v16
	v_fmamk_f16 v99, v101, 0x33a8, v97
	v_fmac_f16_e32 v97, 0xb3a8, v101
	s_delay_alu instid0(VALU_DEP_2) | instskip(NEXT) | instid1(VALU_DEP_2)
	v_add_f16_e32 v99, v17, v99
	v_add_f16_e32 v84, v17, v97
	s_delay_alu instid0(VALU_DEP_2) | instskip(NEXT) | instid1(VALU_DEP_2)
	v_add_f16_e32 v99, v102, v99
	v_add_f16_e32 v18, v18, v84
	v_mul_f16_e32 v84, 0xb94e, v120
	s_delay_alu instid0(VALU_DEP_1) | instskip(SKIP_1) | instid1(VALU_DEP_2)
	v_fma_f16 v97, 0xb9fd, v139, v84
	v_fma_f16 v84, v139, 0xb9fd, -v84
	v_add_f16_e32 v95, v97, v95
	v_mul_f16_e64 v97, 0xb9fd, v136
	s_delay_alu instid0(VALU_DEP_3) | instskip(SKIP_1) | instid1(VALU_DEP_3)
	v_add_f16_e32 v16, v84, v16
	v_mul_f16_e64 v84, 0x3a95, v164
	v_fma_f16 v102, 0x394e, v159, v97
	v_fmac_f16_e64 v97, 0xb94e, v159
	s_delay_alu instid0(VALU_DEP_2) | instskip(NEXT) | instid1(VALU_DEP_2)
	v_add_f16_e32 v99, v102, v99
	v_add_f16_e32 v18, v97, v18
	v_fma_f16 v97, 0x388b, v156, v84
	v_fma_f16 v84, v156, 0x388b, -v84
	s_delay_alu instid0(VALU_DEP_2) | instskip(SKIP_2) | instid1(VALU_DEP_4)
	v_add_f16_e32 v95, v97, v95
	v_fmamk_f16 v97, v23, 0xba95, v26
	v_fmac_f16_e32 v26, 0x3a95, v23
	v_add_f16_e32 v16, v84, v16
	s_delay_alu instid0(VALU_DEP_3) | instskip(NEXT) | instid1(VALU_DEP_3)
	v_add_f16_e32 v97, v97, v99
	v_add_f16_e32 v18, v26, v18
	v_mul_f16_e64 v26, 0xbb7b, v168
	s_delay_alu instid0(VALU_DEP_1) | instskip(SKIP_1) | instid1(VALU_DEP_2)
	v_fma_f16 v84, 0xb5ac, v162, v26
	v_fma_f16 v26, v162, 0xb5ac, -v26
	v_add_f16_e32 v84, v84, v95
	v_fmamk_f16 v95, v25, 0x3b7b, v22
	v_fmac_f16_e32 v22, 0xbb7b, v25
	s_delay_alu instid0(VALU_DEP_4) | instskip(NEXT) | instid1(VALU_DEP_3)
	v_add_f16_e32 v16, v26, v16
	v_add_f16_e32 v95, v95, v97
	s_delay_alu instid0(VALU_DEP_3) | instskip(SKIP_1) | instid1(VALU_DEP_1)
	v_add_f16_e32 v18, v22, v18
	v_mul_f16_e64 v22, 0x3bf1, v170
	v_fmamk_f16 v26, v21, 0x2fb7, v22
	v_fma_f16 v22, v21, 0x2fb7, -v22
	s_delay_alu instid0(VALU_DEP_2) | instskip(SKIP_2) | instid1(VALU_DEP_4)
	v_add_f16_e32 v26, v26, v84
	v_fmamk_f16 v84, v24, 0xbbf1, v20
	v_fmac_f16_e32 v20, 0x3bf1, v24
	v_add_f16_e32 v16, v22, v16
	v_add_f16_e64 v22, v17, v209
	s_delay_alu instid0(VALU_DEP_4) | instskip(NEXT) | instid1(VALU_DEP_4)
	v_add_f16_e32 v84, v84, v95
	v_add_f16_e32 v18, v20, v18
	s_delay_alu instid0(VALU_DEP_3) | instskip(NEXT) | instid1(VALU_DEP_3)
	v_add_f16_e64 v22, v211, v22
	v_pack_b32_f16 v20, v26, v84
	s_delay_alu instid0(VALU_DEP_3)
	v_pack_b32_f16 v16, v16, v18
	v_fma_f16 v26, v139, 0x3b15, -v212
	v_add_f16_e32 v18, v17, v88
	v_add_f16_e64 v22, v215, v22
	ds_store_2addr_b32 v130, v20, v16 offset0:12 offset1:14
	v_fma_f16 v16, v106, 0xb9fd, -v76
	v_fma_f16 v20, v106, 0x2fb7, -v208
	v_add_f16_e64 v18, v190, v18
	v_add_f16_e64 v22, v219, v22
	s_delay_alu instid0(VALU_DEP_4) | instskip(NEXT) | instid1(VALU_DEP_4)
	v_add_f16_e32 v16, v16, v91
	v_add_f16_e32 v20, v20, v93
	s_delay_alu instid0(VALU_DEP_4) | instskip(NEXT) | instid1(VALU_DEP_4)
	v_add_f16_e64 v18, v213, v18
	v_add_f16_e64 v22, v223, v22
	s_delay_alu instid0(VALU_DEP_4) | instskip(SKIP_1) | instid1(VALU_DEP_4)
	v_add_f16_e32 v16, v26, v16
	v_fma_f16 v26, v139, 0x388b, -v214
	v_add_f16_e64 v18, v217, v18
	s_delay_alu instid0(VALU_DEP_4) | instskip(NEXT) | instid1(VALU_DEP_3)
	v_add_f16_e64 v22, v227, v22
	v_add_f16_e32 v20, v26, v20
	v_fma_f16 v26, v156, 0x2fb7, -v216
	s_delay_alu instid0(VALU_DEP_4) | instskip(NEXT) | instid1(VALU_DEP_2)
	v_add_f16_e64 v18, v221, v18
	v_add_f16_e32 v16, v26, v16
	v_fma_f16 v26, v156, 0xbbc4, -v218
	s_delay_alu instid0(VALU_DEP_3) | instskip(NEXT) | instid1(VALU_DEP_2)
	v_add_f16_e64 v18, v225, v18
	v_add_f16_e32 v20, v26, v20
	v_fma_f16 v26, v162, 0xbbc4, -v220
	s_delay_alu instid0(VALU_DEP_1) | instskip(SKIP_1) | instid1(VALU_DEP_1)
	v_add_f16_e32 v16, v26, v16
	v_fma_f16 v26, v162, 0x3b15, -v222
	v_add_f16_e32 v20, v26, v20
	v_fma_f16 v26, v21, 0x388b, -v224
	s_delay_alu instid0(VALU_DEP_1) | instskip(SKIP_1) | instid1(VALU_DEP_2)
	v_add_f16_e32 v16, v26, v16
	v_fma_f16 v26, v21, 0xb5ac, -v226
	v_pack_b32_f16 v16, v16, v18
	s_delay_alu instid0(VALU_DEP_2) | instskip(SKIP_1) | instid1(VALU_DEP_2)
	v_add_f16_e32 v20, v26, v20
	v_add_f16_e32 v18, v17, v80
	v_pack_b32_f16 v20, v20, v22
	v_fma_f16 v22, v139, 0xbbc4, -v192
	s_delay_alu instid0(VALU_DEP_3)
	v_add_f16_e32 v18, v114, v18
	ds_store_2addr_b32 v130, v20, v16 offset0:16 offset1:18
	v_fma_f16 v16, v106, 0xb5ac, -v19
	v_fma_f16 v19, v106, 0xbbc4, -v188
	v_add_f16_e64 v20, v17, v189
	v_add_f16_e64 v18, v193, v18
	s_delay_alu instid0(VALU_DEP_4) | instskip(NEXT) | instid1(VALU_DEP_4)
	v_add_f16_e32 v16, v16, v82
	v_add_f16_e32 v19, v19, v87
	s_delay_alu instid0(VALU_DEP_4) | instskip(NEXT) | instid1(VALU_DEP_4)
	v_add_f16_e64 v20, v191, v20
	v_add_f16_e64 v18, v197, v18
	s_delay_alu instid0(VALU_DEP_4) | instskip(SKIP_1) | instid1(VALU_DEP_4)
	v_add_f16_e32 v16, v22, v16
	v_fma_f16 v22, v139, 0xb5ac, -v194
	v_add_f16_e64 v20, v195, v20
	s_delay_alu instid0(VALU_DEP_4) | instskip(NEXT) | instid1(VALU_DEP_3)
	v_add_f16_e64 v18, v201, v18
	v_add_f16_e32 v19, v22, v19
	v_fma_f16 v22, v156, 0xb9fd, -v196
	s_delay_alu instid0(VALU_DEP_4) | instskip(NEXT) | instid1(VALU_DEP_4)
	v_add_f16_e64 v20, v199, v20
	v_add_f16_e64 v18, v205, v18
	s_delay_alu instid0(VALU_DEP_3) | instskip(SKIP_1) | instid1(VALU_DEP_4)
	v_add_f16_e32 v16, v22, v16
	v_fma_f16 v22, v156, 0x3b15, -v198
	v_add_f16_e64 v20, v203, v20
	s_delay_alu instid0(VALU_DEP_2) | instskip(SKIP_1) | instid1(VALU_DEP_3)
	v_add_f16_e32 v19, v22, v19
	v_fma_f16 v22, v162, 0x2fb7, -v200
	v_add_f16_e64 v20, v207, v20
	s_delay_alu instid0(VALU_DEP_2) | instskip(SKIP_1) | instid1(VALU_DEP_1)
	v_add_f16_e32 v16, v22, v16
	v_fma_f16 v22, v162, 0x388b, -v202
	v_add_f16_e32 v19, v22, v19
	v_fma_f16 v22, v21, 0x3b15, -v204
	s_delay_alu instid0(VALU_DEP_1) | instskip(SKIP_1) | instid1(VALU_DEP_2)
	v_add_f16_e32 v16, v22, v16
	v_fma_f16 v22, v21, 0xb9fd, -v206
	v_pack_b32_f16 v16, v16, v18
	s_delay_alu instid0(VALU_DEP_2) | instskip(SKIP_1) | instid1(VALU_DEP_2)
	v_add_f16_e32 v19, v22, v19
	v_fma_f16 v18, v139, 0x2fb7, -v160
	v_pack_b32_f16 v19, v19, v20
	ds_store_2addr_b32 v130, v19, v16 offset0:20 offset1:22
	v_add_f16_e32 v16, v17, v113
	v_fma_f16 v17, v106, 0x388b, -v110
	s_delay_alu instid0(VALU_DEP_2) | instskip(NEXT) | instid1(VALU_DEP_2)
	v_add_f16_e32 v16, v116, v16
	v_add_f16_e32 v17, v17, v78
	s_delay_alu instid0(VALU_DEP_2) | instskip(NEXT) | instid1(VALU_DEP_2)
	v_add_f16_e64 v16, v161, v16
	v_add_f16_e32 v17, v18, v17
	v_fma_f16 v18, v156, 0xb5ac, -v137
	s_delay_alu instid0(VALU_DEP_3) | instskip(NEXT) | instid1(VALU_DEP_2)
	v_add_f16_e64 v16, v167, v16
	v_add_f16_e32 v17, v18, v17
	v_fma_f16 v18, v162, 0xb9fd, -v163
	s_delay_alu instid0(VALU_DEP_3) | instskip(NEXT) | instid1(VALU_DEP_2)
	;; [unrolled: 4-line block ×3, first 2 shown]
	v_add_f16_e64 v16, v173, v16
	v_add_f16_e32 v17, v18, v17
	s_delay_alu instid0(VALU_DEP_1)
	v_pack_b32_f16 v16, v17, v16
	ds_store_b32 v130, v16 offset:96
	global_wb scope:SCOPE_SE
	s_wait_dscnt 0x0
	s_barrier_signal -1
	s_barrier_wait -1
	global_inv scope:SCOPE_SE
	ds_load_2addr_b32 v[16:17], v72 offset0:104 offset1:156
	s_wait_dscnt 0x0
	v_lshrrev_b32_e32 v18, 16, v16
	v_mul_f16_e64 v19, v134, v16
	s_delay_alu instid0(VALU_DEP_2) | instskip(NEXT) | instid1(VALU_DEP_2)
	v_mul_f16_e64 v27, v134, v18
	v_fma_f16 v76, v8, v18, -v19
	ds_load_2addr_b32 v[18:19], v174 offset0:80 offset1:132
	v_fmac_f16_e32 v27, v8, v16
	v_lshrrev_b32_e32 v8, 16, v17
	s_wait_dscnt 0x0
	v_lshrrev_b32_e32 v20, 16, v18
	v_mul_f16_e64 v21, v133, v18
	s_delay_alu instid0(VALU_DEP_2) | instskip(NEXT) | instid1(VALU_DEP_2)
	v_mul_f16_e64 v78, v133, v20
	v_fma_f16 v80, v9, v20, -v21
	ds_load_2addr_b32 v[20:21], v166 offset0:56 offset1:108
	v_fmac_f16_e32 v78, v9, v18
	v_mul_f16_e64 v18, v186, v8
	s_delay_alu instid0(VALU_DEP_1) | instskip(SKIP_3) | instid1(VALU_DEP_2)
	v_fmac_f16_e32 v18, v12, v17
	s_wait_dscnt 0x0
	v_lshrrev_b32_e32 v22, 16, v20
	v_mul_f16_e64 v23, v132, v20
	v_mul_f16_e64 v130, v132, v22
	s_delay_alu instid0(VALU_DEP_2) | instskip(SKIP_3) | instid1(VALU_DEP_1)
	v_fma_f16 v132, v10, v22, -v23
	ds_load_2addr_b32 v[22:23], v166 offset0:160 offset1:212
	v_fmac_f16_e64 v130, v10, v20
	v_mul_f16_e64 v10, v186, v17
	v_fma_f16 v20, v12, v8, -v10
	s_wait_dscnt 0x0
	v_lshrrev_b32_e32 v24, 16, v22
	v_mul_f16_e64 v25, v141, v22
	v_mul_f16_e64 v26, v185, v23
	s_delay_alu instid0(VALU_DEP_3) | instskip(NEXT) | instid1(VALU_DEP_3)
	v_mul_f16_e64 v139, v141, v24
	v_fma_f16 v141, v11, v24, -v25
	v_lshrrev_b32_e32 v24, 16, v21
	v_mul_f16_e64 v25, v184, v21
	s_delay_alu instid0(VALU_DEP_4) | instskip(SKIP_3) | instid1(VALU_DEP_3)
	v_fmac_f16_e64 v139, v11, v22
	v_lshrrev_b32_e32 v11, 16, v19
	v_mul_f16_e64 v22, v183, v19
	v_mul_f16_e64 v16, v184, v24
	;; [unrolled: 1-line block ×3, first 2 shown]
	s_delay_alu instid0(VALU_DEP_2) | instskip(SKIP_2) | instid1(VALU_DEP_4)
	v_fmac_f16_e32 v16, v14, v21
	v_lshrrev_b32_e32 v21, 16, v23
	v_fma_f16 v14, v14, v24, -v25
	v_fmac_f16_e32 v17, v13, v19
	v_fma_f16 v19, v13, v11, -v22
	ds_load_2addr_b32 v[11:12], v58 offset0:8 offset1:60
	v_mul_f16_e64 v9, v185, v21
	v_fma_f16 v10, v15, v21, -v26
	ds_load_2addr_b32 v[21:22], v58 offset0:112 offset1:164
	ds_load_2addr_b32 v[25:26], v171 offset0:64 offset1:116
	v_fmac_f16_e32 v9, v15, v23
	ds_load_2addr_b32 v[23:24], v172 offset0:88 offset1:140
	s_wait_dscnt 0x3
	v_lshrrev_b32_e32 v8, 16, v11
	v_mul_f16_e64 v13, v142, v11
	s_wait_dscnt 0x2
	v_mul_f16_e64 v15, v177, v22
	s_delay_alu instid0(VALU_DEP_3) | instskip(NEXT) | instid1(VALU_DEP_3)
	v_mul_f16_e64 v156, v142, v8
	v_fma_f16 v159, v4, v8, -v13
	v_lshrrev_b32_e32 v8, 16, v21
	v_mul_f16_e64 v13, v146, v21
	s_delay_alu instid0(VALU_DEP_4) | instskip(NEXT) | instid1(VALU_DEP_3)
	v_fmac_f16_e64 v156, v4, v11
	v_mul_f16_e64 v164, v146, v8
	s_delay_alu instid0(VALU_DEP_3)
	v_fma_f16 v163, v5, v8, -v13
	s_wait_dscnt 0x0
	v_lshrrev_b32_e32 v8, 16, v23
	v_mul_f16_e64 v13, v145, v23
	v_fmac_f16_e64 v164, v5, v21
	v_lshrrev_b32_e32 v21, 16, v24
	s_delay_alu instid0(VALU_DEP_4) | instskip(NEXT) | instid1(VALU_DEP_4)
	v_mul_f16_e64 v167, v145, v8
	v_fma_f16 v168, v6, v8, -v13
	v_lshrrev_b32_e32 v8, 16, v25
	v_mul_f16_e64 v13, v140, v25
	v_mul_f16_e64 v5, v180, v21
	v_fmac_f16_e64 v167, v6, v23
	v_lshrrev_b32_e32 v23, 16, v26
	v_mul_f16_e64 v160, v140, v8
	v_fma_f16 v146, v7, v8, -v13
	v_lshrrev_b32_e32 v13, 16, v22
	v_mul_f16_e64 v8, v182, v12
	v_fmac_f16_e32 v5, v34, v24
	v_fmac_f16_e64 v160, v7, v25
	v_lshrrev_b32_e32 v7, 16, v12
	v_mul_f16_e64 v4, v177, v13
	v_mul_f16_e64 v11, v179, v23
	v_sub_f16_e64 v169, v159, v146
	v_add_f16_e64 v170, v159, v146
	v_mul_f16_e64 v6, v182, v7
	v_fmac_f16_e32 v4, v33, v22
	v_mul_f16_e64 v22, v180, v24
	v_mul_f16_e64 v24, v179, v26
	v_fmac_f16_e32 v11, v35, v26
	v_fmac_f16_e32 v6, v32, v12
	v_fma_f16 v12, v32, v7, -v8
	v_fma_f16 v8, v34, v21, -v22
	ds_load_2addr_b32 v[21:22], v171 offset0:168 offset1:220
	v_fma_f16 v7, v33, v13, -v15
	v_fma_f16 v13, v35, v23, -v24
	v_sub_f16_e64 v172, v163, v168
	v_add_f16_e64 v173, v163, v168
	s_wait_dscnt 0x0
	v_lshrrev_b32_e32 v15, 16, v21
	v_mul_f16_e64 v23, v138, v21
	s_delay_alu instid0(VALU_DEP_2) | instskip(NEXT) | instid1(VALU_DEP_2)
	v_mul_f16_e64 v82, v138, v15
	v_fma_f16 v84, v0, v15, -v23
	ds_load_2addr_b32 v[23:24], v165 offset0:16 offset1:68
	v_fmac_f16_e32 v82, v0, v21
	v_lshrrev_b32_e32 v0, 16, v22
	v_sub_f16_e64 v161, v141, v84
	v_add_f16_e64 v162, v141, v84
	s_delay_alu instid0(VALU_DEP_4) | instskip(NEXT) | instid1(VALU_DEP_3)
	v_add_f16_e64 v138, v139, v82
	v_mul_f16_e64 v140, 0xbb7b, v161
	s_wait_dscnt 0x0
	v_lshrrev_b32_e32 v15, 16, v23
	v_mul_f16_e64 v25, v135, v23
	v_lshrrev_b32_e32 v21, 16, v24
	s_delay_alu instid0(VALU_DEP_3) | instskip(NEXT) | instid1(VALU_DEP_3)
	v_mul_f16_e64 v87, v135, v15
	v_fma_f16 v88, v1, v15, -v25
	ds_load_2addr_b32 v[25:26], v165 offset0:120 offset1:172
	v_fmac_f16_e32 v87, v1, v23
	v_mul_f16_e64 v1, v175, v22
	v_sub_f16_e64 v142, v132, v88
	v_add_f16_e64 v145, v132, v88
	s_delay_alu instid0(VALU_DEP_1) | instskip(SKIP_3) | instid1(VALU_DEP_2)
	v_mul_f16_e64 v133, 0x2fb7, v145
	s_wait_dscnt 0x0
	v_lshrrev_b32_e32 v15, 16, v25
	v_mul_f16_e64 v32, v129, v25
	v_mul_f16_e64 v35, v129, v15
	s_delay_alu instid0(VALU_DEP_2)
	v_fma_f16 v91, v2, v15, -v32
	ds_load_2addr_b32 v[32:33], v187 offset0:96 offset1:148
	v_add_f16_e64 v129, v130, v87
	v_fmac_f16_e32 v35, v2, v25
	v_mul_f16_e64 v2, v175, v0
	v_mul_f16_e64 v25, v178, v24
	v_sub_f16_e64 v134, v80, v91
	v_add_f16_e64 v135, v80, v91
	s_delay_alu instid0(VALU_DEP_4) | instskip(NEXT) | instid1(VALU_DEP_3)
	v_fmac_f16_e32 v2, v28, v22
	v_mul_f16_e64 v183, 0x3bf1, v134
	s_delay_alu instid0(VALU_DEP_3)
	v_mul_f16_e64 v99, 0xbbc4, v135
	v_mul_f16_e64 v180, 0xb9fd, v135
	v_mul_f16_e64 v186, 0x2fb7, v135
	s_wait_dscnt 0x0
	v_lshrrev_b32_e32 v15, 16, v32
	v_mul_f16_e64 v34, v128, v32
	s_delay_alu instid0(VALU_DEP_2) | instskip(NEXT) | instid1(VALU_DEP_2)
	v_mul_f16_e64 v93, v128, v15
	v_fma_f16 v95, v3, v15, -v34
	v_mul_f16_e64 v15, v178, v21
	v_mul_f16_e64 v34, v176, v33
	v_fma_f16 v21, v29, v21, -v25
	v_fmac_f16_e32 v93, v3, v32
	v_fma_f16 v3, v28, v0, -v1
	ds_load_2addr_b32 v[0:1], v72 offset1:52
	v_fmac_f16_e32 v15, v29, v24
	v_lshrrev_b32_e32 v24, 16, v26
	v_mul_f16_e64 v32, v181, v26
	v_sub_f16_e32 v28, v27, v93
	v_sub_f16_e64 v128, v76, v95
	global_wb scope:SCOPE_SE
	s_wait_dscnt 0x0
	v_mul_f16_e64 v22, v181, v24
	v_fma_f16 v24, v30, v24, -v32
	s_barrier_signal -1
	v_mul_f16_e64 v32, 0xb770, v128
	s_barrier_wait -1
	v_fmac_f16_e32 v22, v30, v26
	v_lshrrev_b32_e32 v26, 16, v33
	v_sub_f16_e32 v30, v78, v35
	global_inv scope:SCOPE_SE
	v_mul_f16_e64 v23, v176, v26
	v_fma_f16 v25, v31, v26, -v34
	v_add_f16_e32 v26, v0, v27
	v_add_f16_e32 v34, v76, v95
	v_fmamk_f16 v101, v30, 0x33a8, v99
	v_fmac_f16_e32 v23, v31, v33
	v_fma_f16 v181, 0xb94e, v30, v180
	v_add_f16_e32 v26, v26, v78
	v_fma_f16 v187, 0xbbf1, v30, v186
	v_fmac_f16_e64 v180, 0x394e, v30
	v_fmac_f16_e64 v186, 0x3bf1, v30
	v_fmac_f16_e32 v99, 0xb3a8, v30
	v_add_f16_e64 v26, v26, v130
	v_sub_f16_e64 v130, v130, v87
	s_delay_alu instid0(VALU_DEP_2) | instskip(SKIP_1) | instid1(VALU_DEP_2)
	v_add_f16_e64 v26, v26, v139
	v_sub_f16_e64 v139, v139, v82
	v_add_f16_e64 v26, v26, v156
	s_delay_alu instid0(VALU_DEP_1) | instskip(NEXT) | instid1(VALU_DEP_1)
	v_add_f16_e64 v26, v26, v164
	v_add_f16_e64 v26, v26, v167
	s_delay_alu instid0(VALU_DEP_1) | instskip(NEXT) | instid1(VALU_DEP_1)
	v_add_f16_e64 v26, v26, v160
	v_add_f16_e32 v26, v26, v82
	s_delay_alu instid0(VALU_DEP_1) | instskip(SKIP_1) | instid1(VALU_DEP_2)
	v_add_f16_e32 v26, v26, v87
	v_mul_f16_e64 v87, 0xb5ac, v135
	v_add_f16_e32 v29, v26, v35
	v_add_f16_e32 v26, v27, v93
	v_lshrrev_b32_e32 v27, 16, v0
	s_delay_alu instid0(VALU_DEP_3) | instskip(NEXT) | instid1(VALU_DEP_3)
	v_add_f16_e64 v136, v29, v93
	v_fmamk_f16 v31, v26, 0x3b15, v32
	s_delay_alu instid0(VALU_DEP_3) | instskip(SKIP_1) | instid1(VALU_DEP_3)
	v_add_f16_e32 v29, v27, v76
	v_mul_f16_e64 v93, 0xb3a8, v134
	v_add_f16_e32 v33, v0, v31
	s_delay_alu instid0(VALU_DEP_3) | instskip(SKIP_1) | instid1(VALU_DEP_2)
	v_add_f16_e32 v29, v29, v80
	v_mul_f16_e64 v31, 0xba95, v134
	v_add_f16_e64 v29, v29, v132
	v_mul_f16_e64 v132, 0xbbf1, v142
	s_delay_alu instid0(VALU_DEP_2) | instskip(SKIP_1) | instid1(VALU_DEP_2)
	v_add_f16_e64 v29, v29, v141
	v_mul_f16_e64 v141, 0xb5ac, v162
	v_add_f16_e64 v29, v29, v159
	v_mul_f16_e64 v159, 0xb94e, v169
	s_delay_alu instid0(VALU_DEP_2) | instskip(SKIP_3) | instid1(VALU_DEP_4)
	v_add_f16_e64 v29, v29, v163
	v_add_f16_e64 v163, v164, v167
	v_sub_f16_e64 v164, v164, v167
	v_mul_f16_e64 v167, 0xb3a8, v172
	v_add_f16_e64 v29, v29, v168
	v_mul_f16_e64 v168, 0xbbc4, v173
	s_delay_alu instid0(VALU_DEP_2) | instskip(SKIP_3) | instid1(VALU_DEP_4)
	v_add_f16_e64 v29, v29, v146
	v_add_f16_e64 v146, v156, v160
	v_sub_f16_e64 v156, v156, v160
	v_mul_f16_e64 v160, 0xb9fd, v170
	v_add_f16_e32 v29, v29, v84
	s_delay_alu instid0(VALU_DEP_1) | instskip(SKIP_2) | instid1(VALU_DEP_3)
	v_add_f16_e32 v29, v29, v88
	v_fmamk_f16 v88, v30, 0x3b7b, v87
	v_fmac_f16_e32 v87, 0xbb7b, v30
	v_add_f16_e32 v29, v29, v91
	s_delay_alu instid0(VALU_DEP_1) | instskip(SKIP_1) | instid1(VALU_DEP_1)
	v_add_f16_e64 v137, v29, v95
	v_add_f16_e32 v29, v78, v35
	v_fmamk_f16 v35, v29, 0x388b, v31
	v_fmamk_f16 v95, v29, 0xbbc4, v93
	v_fma_f16 v184, 0x2fb7, v29, v183
	v_fma_f16 v31, v29, 0x388b, -v31
	s_delay_alu instid0(VALU_DEP_4) | instskip(SKIP_1) | instid1(VALU_DEP_1)
	v_add_f16_e32 v76, v35, v33
	v_mul_f16_e32 v35, 0x3b15, v34
	v_fmamk_f16 v33, v28, 0x3770, v35
	v_fmac_f16_e32 v35, 0xb770, v28
	s_delay_alu instid0(VALU_DEP_2) | instskip(SKIP_2) | instid1(VALU_DEP_2)
	v_add_f16_e32 v78, v27, v33
	v_mul_f16_e64 v33, 0x388b, v135
	v_mul_f16_e64 v135, 0x3b15, v135
	v_fmamk_f16 v80, v30, 0x3a95, v33
	v_fmac_f16_e32 v33, 0xba95, v30
	s_delay_alu instid0(VALU_DEP_2) | instskip(SKIP_1) | instid1(VALU_DEP_1)
	v_add_f16_e32 v78, v80, v78
	v_fma_f16 v80, 0x2fb7, v129, v132
	v_add_f16_e32 v76, v80, v76
	v_fma_f16 v80, 0x3bf1, v130, v133
	v_fmac_f16_e64 v133, 0xbbf1, v130
	s_delay_alu instid0(VALU_DEP_2) | instskip(SKIP_1) | instid1(VALU_DEP_1)
	v_add_f16_e32 v78, v80, v78
	v_fma_f16 v80, 0xb5ac, v138, v140
	v_add_f16_e32 v76, v80, v76
	v_fma_f16 v80, 0x3b7b, v139, v141
	v_fmac_f16_e64 v141, 0xbb7b, v139
	;; [unrolled: 6-line block ×3, first 2 shown]
	s_delay_alu instid0(VALU_DEP_2) | instskip(SKIP_1) | instid1(VALU_DEP_1)
	v_add_f16_e32 v78, v80, v78
	v_fma_f16 v80, 0xbbc4, v163, v167
	v_add_f16_e64 v175, v80, v76
	v_fma_f16 v76, 0x33a8, v164, v168
	v_mul_f16_e64 v80, 0xbb7b, v134
	v_fmac_f16_e64 v168, 0xb3a8, v164
	s_delay_alu instid0(VALU_DEP_3) | instskip(SKIP_1) | instid1(VALU_DEP_4)
	v_add_f16_e64 v176, v76, v78
	v_pack_b32_f16 v76, v136, v137
	v_fmamk_f16 v82, v29, 0xb5ac, v80
	s_delay_alu instid0(VALU_DEP_3) | instskip(SKIP_2) | instid1(VALU_DEP_1)
	v_pack_b32_f16 v78, v175, v176
	ds_store_2addr_b32 v127, v76, v78 offset1:26
	v_mul_f16_e64 v76, 0xba95, v128
	v_fmamk_f16 v78, v26, 0x388b, v76
	s_delay_alu instid0(VALU_DEP_1) | instskip(NEXT) | instid1(VALU_DEP_1)
	v_add_f16_e32 v78, v0, v78
	v_add_f16_e32 v78, v82, v78
	v_mul_f16_e32 v82, 0x388b, v34
	s_delay_alu instid0(VALU_DEP_1) | instskip(SKIP_1) | instid1(VALU_DEP_2)
	v_fmamk_f16 v84, v28, 0x3a95, v82
	v_fmac_f16_e32 v82, 0xba95, v28
	v_add_f16_e32 v84, v27, v84
	s_delay_alu instid0(VALU_DEP_1) | instskip(SKIP_1) | instid1(VALU_DEP_1)
	v_add_f16_e32 v84, v88, v84
	v_mul_f16_e64 v88, 0xbbf1, v128
	v_fmamk_f16 v91, v26, 0x2fb7, v88
	s_delay_alu instid0(VALU_DEP_1) | instskip(NEXT) | instid1(VALU_DEP_1)
	v_add_f16_e32 v91, v0, v91
	v_add_f16_e32 v91, v95, v91
	v_mul_f16_e32 v95, 0x2fb7, v34
	s_delay_alu instid0(VALU_DEP_1) | instskip(SKIP_1) | instid1(VALU_DEP_2)
	v_fmamk_f16 v97, v28, 0x3bf1, v95
	v_fmac_f16_e32 v95, 0xbbf1, v28
	v_add_f16_e32 v97, v27, v97
	s_delay_alu instid0(VALU_DEP_1) | instskip(SKIP_1) | instid1(VALU_DEP_1)
	v_add_f16_e32 v97, v101, v97
	v_mul_f16_e64 v101, 0xb3a8, v142
	v_fma_f16 v102, 0xbbc4, v129, v101
	s_delay_alu instid0(VALU_DEP_1) | instskip(SKIP_1) | instid1(VALU_DEP_1)
	v_add_f16_e32 v78, v102, v78
	v_mul_f16_e64 v102, 0xbbc4, v145
	v_fma_f16 v104, 0x33a8, v130, v102
	v_fmac_f16_e64 v102, 0xb3a8, v130
	s_delay_alu instid0(VALU_DEP_2) | instskip(SKIP_1) | instid1(VALU_DEP_1)
	v_add_f16_e32 v84, v104, v84
	v_mul_f16_e64 v104, 0x3b7b, v142
	v_fma_f16 v106, 0xb5ac, v129, v104
	s_delay_alu instid0(VALU_DEP_1) | instskip(SKIP_1) | instid1(VALU_DEP_1)
	v_add_f16_e32 v91, v106, v91
	v_mul_f16_e64 v106, 0xb5ac, v145
	v_fma_f16 v108, 0xbb7b, v130, v106
	v_fmac_f16_e64 v106, 0x3b7b, v130
	s_delay_alu instid0(VALU_DEP_2) | instskip(SKIP_1) | instid1(VALU_DEP_1)
	;; [unrolled: 9-line block ×5, first 2 shown]
	v_add_f16_e64 v84, v136, v84
	v_mul_f16_e64 v136, 0xba95, v169
	v_fma_f16 v137, 0x388b, v146, v136
	s_delay_alu instid0(VALU_DEP_1) | instskip(SKIP_1) | instid1(VALU_DEP_1)
	v_add_f16_e64 v91, v137, v91
	v_mul_f16_e64 v137, 0x388b, v170
	v_fma_f16 v175, 0x3a95, v156, v137
	v_fmac_f16_e64 v137, 0xba95, v156
	s_delay_alu instid0(VALU_DEP_2) | instskip(SKIP_1) | instid1(VALU_DEP_1)
	v_add_f16_e64 v97, v175, v97
	v_mul_f16_e64 v175, 0x3770, v172
	v_fma_f16 v176, 0x3b15, v163, v175
	s_delay_alu instid0(VALU_DEP_1) | instskip(SKIP_1) | instid1(VALU_DEP_1)
	v_add_f16_e64 v78, v176, v78
	v_mul_f16_e64 v176, 0x3b15, v173
	v_fma_f16 v177, 0xb770, v164, v176
	v_fmac_f16_e64 v176, 0x3770, v164
	s_delay_alu instid0(VALU_DEP_2) | instskip(SKIP_1) | instid1(VALU_DEP_2)
	v_add_f16_e64 v84, v177, v84
	v_mul_f16_e64 v177, 0xb94e, v172
	v_pack_b32_f16 v78, v78, v84
	s_delay_alu instid0(VALU_DEP_2) | instskip(NEXT) | instid1(VALU_DEP_1)
	v_fma_f16 v178, 0xb9fd, v163, v177
	v_add_f16_e64 v91, v178, v91
	v_mul_f16_e64 v178, 0xb9fd, v173
	s_delay_alu instid0(VALU_DEP_1) | instskip(SKIP_1) | instid1(VALU_DEP_2)
	v_fma_f16 v179, 0x394e, v164, v178
	v_fmac_f16_e64 v178, 0xb94e, v164
	v_add_f16_e64 v97, v179, v97
	s_delay_alu instid0(VALU_DEP_1) | instskip(SKIP_4) | instid1(VALU_DEP_2)
	v_pack_b32_f16 v84, v91, v97
	v_mul_f16_e64 v91, 0x394e, v134
	ds_store_2addr_b32 v127, v78, v84 offset0:52 offset1:78
	v_mul_f16_e64 v78, 0xbb7b, v128
	v_fmamk_f16 v97, v29, 0xb9fd, v91
	v_fmamk_f16 v84, v26, 0xb5ac, v78
	s_delay_alu instid0(VALU_DEP_1) | instskip(NEXT) | instid1(VALU_DEP_1)
	v_add_f16_e32 v84, v0, v84
	v_add_f16_e32 v84, v97, v84
	v_mul_f16_e32 v97, 0xb5ac, v34
	s_delay_alu instid0(VALU_DEP_1) | instskip(SKIP_1) | instid1(VALU_DEP_2)
	v_fma_f16 v179, 0x3b7b, v28, v97
	v_fmac_f16_e32 v97, 0xbb7b, v28
	v_add_f16_e64 v179, v27, v179
	s_delay_alu instid0(VALU_DEP_1) | instskip(SKIP_1) | instid1(VALU_DEP_1)
	v_add_f16_e64 v179, v181, v179
	v_mul_f16_e64 v181, 0xb94e, v128
	v_fma_f16 v182, 0xb9fd, v26, v181
	s_delay_alu instid0(VALU_DEP_1) | instskip(NEXT) | instid1(VALU_DEP_1)
	v_add_f16_e64 v182, v0, v182
	v_add_f16_e64 v182, v184, v182
	v_mul_f16_e64 v184, 0xb9fd, v34
	v_mul_f16_e32 v34, 0xbbc4, v34
	s_delay_alu instid0(VALU_DEP_2) | instskip(SKIP_1) | instid1(VALU_DEP_2)
	v_fma_f16 v185, 0x394e, v28, v184
	v_fmac_f16_e64 v184, 0xb94e, v28
	v_add_f16_e64 v185, v27, v185
	s_delay_alu instid0(VALU_DEP_1) | instskip(SKIP_1) | instid1(VALU_DEP_1)
	v_add_f16_e64 v185, v187, v185
	v_mul_f16_e64 v187, 0x3770, v142
	v_fma_f16 v188, 0x3b15, v129, v187
	s_delay_alu instid0(VALU_DEP_1) | instskip(SKIP_1) | instid1(VALU_DEP_1)
	v_add_f16_e64 v84, v188, v84
	v_mul_f16_e64 v188, 0x3b15, v145
	v_fma_f16 v189, 0xb770, v130, v188
	v_fmac_f16_e64 v188, 0x3770, v130
	s_delay_alu instid0(VALU_DEP_2) | instskip(SKIP_1) | instid1(VALU_DEP_1)
	v_add_f16_e64 v179, v189, v179
	v_mul_f16_e64 v189, 0xba95, v142
	v_fma_f16 v190, 0x388b, v129, v189
	s_delay_alu instid0(VALU_DEP_1) | instskip(SKIP_1) | instid1(VALU_DEP_1)
	v_add_f16_e64 v182, v190, v182
	v_mul_f16_e64 v190, 0x388b, v145
	v_fma_f16 v191, 0x3a95, v130, v190
	v_fmac_f16_e64 v190, 0xba95, v130
	s_delay_alu instid0(VALU_DEP_2) | instskip(SKIP_1) | instid1(VALU_DEP_1)
	v_add_f16_e64 v185, v191, v185
	v_mul_f16_e64 v191, 0xbbf1, v161
	v_fma_f16 v192, 0x2fb7, v138, v191
	s_delay_alu instid0(VALU_DEP_1) | instskip(SKIP_1) | instid1(VALU_DEP_1)
	v_add_f16_e64 v84, v192, v84
	v_mul_f16_e64 v192, 0x2fb7, v162
	v_fma_f16 v193, 0x3bf1, v139, v192
	v_fmac_f16_e64 v192, 0xbbf1, v139
	s_delay_alu instid0(VALU_DEP_2) | instskip(SKIP_1) | instid1(VALU_DEP_1)
	v_add_f16_e64 v179, v193, v179
	v_mul_f16_e64 v193, 0x33a8, v161
	v_fma_f16 v194, 0xbbc4, v138, v193
	s_delay_alu instid0(VALU_DEP_1) | instskip(SKIP_1) | instid1(VALU_DEP_1)
	v_add_f16_e64 v182, v194, v182
	v_mul_f16_e64 v194, 0xbbc4, v162
	v_fma_f16 v195, 0xb3a8, v139, v194
	v_fmac_f16_e64 v194, 0x33a8, v139
	s_delay_alu instid0(VALU_DEP_2) | instskip(SKIP_1) | instid1(VALU_DEP_1)
	v_add_f16_e64 v185, v195, v185
	v_mul_f16_e64 v195, 0x33a8, v169
	v_fma_f16 v196, 0xbbc4, v146, v195
	s_delay_alu instid0(VALU_DEP_1) | instskip(SKIP_1) | instid1(VALU_DEP_1)
	v_add_f16_e64 v84, v196, v84
	v_mul_f16_e64 v196, 0xbbc4, v170
	v_fma_f16 v197, 0xb3a8, v156, v196
	v_fmac_f16_e64 v196, 0x33a8, v156
	s_delay_alu instid0(VALU_DEP_2) | instskip(SKIP_1) | instid1(VALU_DEP_1)
	v_add_f16_e64 v179, v197, v179
	v_mul_f16_e64 v197, 0x3770, v169
	v_fma_f16 v198, 0x3b15, v146, v197
	s_delay_alu instid0(VALU_DEP_1) | instskip(SKIP_1) | instid1(VALU_DEP_1)
	v_add_f16_e64 v182, v198, v182
	v_mul_f16_e64 v198, 0x3b15, v170
	v_fma_f16 v199, 0xb770, v156, v198
	v_fmac_f16_e64 v198, 0x3770, v156
	s_delay_alu instid0(VALU_DEP_2) | instskip(SKIP_1) | instid1(VALU_DEP_1)
	v_add_f16_e64 v185, v199, v185
	v_mul_f16_e64 v199, 0x3a95, v172
	v_fma_f16 v200, 0x388b, v163, v199
	s_delay_alu instid0(VALU_DEP_1) | instskip(SKIP_1) | instid1(VALU_DEP_1)
	v_add_f16_e64 v84, v200, v84
	v_mul_f16_e64 v200, 0x388b, v173
	v_fma_f16 v201, 0xba95, v164, v200
	v_fmac_f16_e64 v200, 0x3a95, v164
	s_delay_alu instid0(VALU_DEP_2) | instskip(SKIP_1) | instid1(VALU_DEP_2)
	v_add_f16_e64 v179, v201, v179
	v_mul_f16_e64 v201, 0xbb7b, v172
	v_pack_b32_f16 v84, v84, v179
	s_delay_alu instid0(VALU_DEP_2) | instskip(NEXT) | instid1(VALU_DEP_1)
	v_fma_f16 v202, 0xb5ac, v163, v201
	v_add_f16_e64 v182, v202, v182
	v_mul_f16_e64 v202, 0xb5ac, v173
	s_delay_alu instid0(VALU_DEP_1) | instskip(SKIP_1) | instid1(VALU_DEP_2)
	v_fma_f16 v203, 0x3b7b, v164, v202
	v_fmac_f16_e64 v202, 0xbb7b, v164
	v_add_f16_e64 v185, v203, v185
	s_delay_alu instid0(VALU_DEP_1)
	v_pack_b32_f16 v179, v182, v185
	v_fma_f16 v182, 0xb770, v30, v135
	v_fmac_f16_e64 v135, 0x3770, v30
	ds_store_2addr_b32 v127, v84, v179 offset0:104 offset1:130
	v_mul_f16_e64 v84, 0xb3a8, v128
	v_mul_f16_e64 v128, 0x3770, v134
	s_delay_alu instid0(VALU_DEP_2) | instskip(NEXT) | instid1(VALU_DEP_2)
	v_fma_f16 v134, 0xbbc4, v26, v84
	v_fma_f16 v179, 0x3b15, v29, v128
	v_fma_f16 v84, v26, 0xbbc4, -v84
	v_fma_f16 v128, v29, 0x3b15, -v128
	s_delay_alu instid0(VALU_DEP_4) | instskip(NEXT) | instid1(VALU_DEP_3)
	v_add_f16_e64 v134, v0, v134
	v_add_f16_e32 v84, v0, v84
	s_delay_alu instid0(VALU_DEP_2) | instskip(SKIP_2) | instid1(VALU_DEP_4)
	v_add_f16_e64 v134, v179, v134
	v_fma_f16 v179, 0x33a8, v28, v34
	v_fmac_f16_e32 v34, 0xb3a8, v28
	v_add_f16_e64 v84, v128, v84
	v_mul_f16_e64 v128, 0xb94e, v142
	v_fma_f16 v28, v26, 0x3b15, -v32
	v_add_f16_e64 v179, v27, v179
	v_add_f16_e32 v34, v27, v34
	v_fma_f16 v32, v26, 0x388b, -v76
	s_delay_alu instid0(VALU_DEP_4) | instskip(NEXT) | instid1(VALU_DEP_4)
	v_add_f16_e32 v28, v0, v28
	v_add_f16_e64 v179, v182, v179
	s_delay_alu instid0(VALU_DEP_4) | instskip(SKIP_4) | instid1(VALU_DEP_4)
	v_add_f16_e64 v34, v135, v34
	v_fma_f16 v135, 0xb9fd, v129, v128
	v_fma_f16 v128, v129, 0xb9fd, -v128
	v_add_f16_e32 v28, v31, v28
	v_add_f16_e32 v32, v0, v32
	v_add_f16_e64 v134, v135, v134
	v_mul_f16_e64 v135, 0xb9fd, v145
	v_add_f16_e64 v84, v128, v84
	v_mul_f16_e64 v128, 0x3a95, v161
	s_delay_alu instid0(VALU_DEP_3) | instskip(SKIP_1) | instid1(VALU_DEP_2)
	v_fma_f16 v142, 0x394e, v130, v135
	v_fmac_f16_e64 v135, 0xb94e, v130
	v_add_f16_e64 v142, v142, v179
	s_delay_alu instid0(VALU_DEP_2) | instskip(SKIP_2) | instid1(VALU_DEP_2)
	v_add_f16_e64 v34, v135, v34
	v_fma_f16 v135, 0x388b, v138, v128
	v_fma_f16 v128, v138, 0x388b, -v128
	v_add_f16_e64 v134, v135, v134
	v_mul_f16_e64 v135, 0x388b, v162
	s_delay_alu instid0(VALU_DEP_3) | instskip(SKIP_1) | instid1(VALU_DEP_3)
	v_add_f16_e64 v84, v128, v84
	v_mul_f16_e64 v128, 0xbb7b, v169
	v_fma_f16 v145, 0xba95, v139, v135
	v_fmac_f16_e64 v135, 0x3a95, v139
	s_delay_alu instid0(VALU_DEP_2) | instskip(NEXT) | instid1(VALU_DEP_2)
	v_add_f16_e64 v142, v145, v142
	v_add_f16_e64 v34, v135, v34
	v_fma_f16 v135, 0xb5ac, v146, v128
	v_fma_f16 v128, v146, 0xb5ac, -v128
	s_delay_alu instid0(VALU_DEP_2) | instskip(SKIP_1) | instid1(VALU_DEP_3)
	v_add_f16_e64 v134, v135, v134
	v_mul_f16_e64 v135, 0xb5ac, v170
	v_add_f16_e64 v84, v128, v84
	v_mul_f16_e64 v128, 0x3bf1, v172
	s_delay_alu instid0(VALU_DEP_3) | instskip(SKIP_1) | instid1(VALU_DEP_2)
	v_fma_f16 v145, 0x3b7b, v156, v135
	v_fmac_f16_e64 v135, 0xbb7b, v156
	v_add_f16_e64 v142, v145, v142
	s_delay_alu instid0(VALU_DEP_2) | instskip(SKIP_2) | instid1(VALU_DEP_2)
	v_add_f16_e64 v34, v135, v34
	v_fma_f16 v135, 0x2fb7, v163, v128
	v_fma_f16 v128, v163, 0x2fb7, -v128
	v_add_f16_e64 v134, v135, v134
	v_mul_f16_e64 v135, 0x2fb7, v173
	s_delay_alu instid0(VALU_DEP_3) | instskip(NEXT) | instid1(VALU_DEP_2)
	v_add_f16_e64 v84, v128, v84
	v_fma_f16 v145, 0xbbf1, v164, v135
	v_fmac_f16_e64 v135, 0x3bf1, v164
	s_delay_alu instid0(VALU_DEP_2) | instskip(NEXT) | instid1(VALU_DEP_2)
	v_add_f16_e64 v142, v145, v142
	v_add_f16_e64 v34, v135, v34
	s_delay_alu instid0(VALU_DEP_2) | instskip(NEXT) | instid1(VALU_DEP_2)
	v_pack_b32_f16 v128, v134, v142
	v_pack_b32_f16 v34, v84, v34
	v_fma_f16 v84, v26, 0xb9fd, -v181
	ds_store_2addr_b32 v127, v128, v34 offset0:156 offset1:182
	v_fma_f16 v34, v26, 0xb5ac, -v78
	v_fma_f16 v78, v29, 0xb9fd, -v91
	v_add_f16_e32 v84, v0, v84
	v_fma_f16 v91, v29, 0x2fb7, -v183
	v_fma_f16 v26, v26, 0x2fb7, -v88
	v_add_f16_e32 v34, v0, v34
	s_delay_alu instid0(VALU_DEP_3) | instskip(SKIP_1) | instid1(VALU_DEP_3)
	v_add_f16_e32 v84, v91, v84
	v_add_f16_e64 v91, v27, v184
	v_add_f16_e32 v34, v78, v34
	v_add_f16_e32 v78, v27, v97
	v_fma_f16 v97, v129, 0x3b15, -v187
	v_add_f16_e32 v0, v0, v26
	v_add_f16_e64 v91, v186, v91
	s_delay_alu instid0(VALU_DEP_4) | instskip(NEXT) | instid1(VALU_DEP_4)
	v_add_f16_e64 v78, v180, v78
	v_add_f16_e32 v34, v97, v34
	v_fma_f16 v97, v129, 0x388b, -v189
	s_delay_alu instid0(VALU_DEP_4) | instskip(NEXT) | instid1(VALU_DEP_4)
	v_add_f16_e64 v91, v190, v91
	v_add_f16_e64 v78, v188, v78
	s_delay_alu instid0(VALU_DEP_3) | instskip(SKIP_1) | instid1(VALU_DEP_4)
	v_add_f16_e32 v84, v97, v84
	v_fma_f16 v97, v138, 0x2fb7, -v191
	v_add_f16_e64 v91, v194, v91
	s_delay_alu instid0(VALU_DEP_4) | instskip(NEXT) | instid1(VALU_DEP_3)
	v_add_f16_e64 v78, v192, v78
	v_add_f16_e32 v34, v97, v34
	v_fma_f16 v97, v138, 0xbbc4, -v193
	s_delay_alu instid0(VALU_DEP_3) | instskip(SKIP_1) | instid1(VALU_DEP_3)
	v_add_f16_e64 v78, v196, v78
	v_add_f16_e64 v91, v198, v91
	v_add_f16_e32 v84, v97, v84
	v_fma_f16 v97, v146, 0xbbc4, -v195
	s_delay_alu instid0(VALU_DEP_3) | instskip(SKIP_1) | instid1(VALU_DEP_3)
	v_add_f16_e64 v91, v202, v91
	v_add_f16_e64 v78, v200, v78
	v_add_f16_e32 v34, v97, v34
	v_fma_f16 v97, v146, 0x3b15, -v197
	s_delay_alu instid0(VALU_DEP_1) | instskip(SKIP_1) | instid1(VALU_DEP_1)
	v_add_f16_e32 v84, v97, v84
	v_fma_f16 v97, v163, 0x388b, -v199
	v_add_f16_e32 v34, v97, v34
	v_fma_f16 v97, v163, 0xb5ac, -v201
	s_delay_alu instid0(VALU_DEP_2) | instskip(NEXT) | instid1(VALU_DEP_2)
	v_pack_b32_f16 v34, v34, v78
	v_add_f16_e32 v84, v97, v84
	s_delay_alu instid0(VALU_DEP_1) | instskip(SKIP_4) | instid1(VALU_DEP_3)
	v_pack_b32_f16 v84, v84, v91
	ds_store_2addr_b32 v127, v84, v34 offset0:208 offset1:234
	v_add_f16_e32 v34, v27, v35
	v_add_f16_e32 v35, v27, v82
	;; [unrolled: 1-line block ×4, first 2 shown]
	v_fma_f16 v33, v29, 0xb5ac, -v80
	v_add_f16_e32 v34, v18, v23
	v_fma_f16 v29, v29, 0xbbc4, -v93
	v_add_f16_e32 v26, v99, v27
	v_add_f16_e64 v30, v133, v31
	v_add_f16_e32 v32, v33, v32
	v_add_f16_e32 v33, v87, v35
	v_add_f16_e32 v0, v29, v0
	v_fma_f16 v27, v129, 0x2fb7, -v132
	v_fma_f16 v29, v129, 0xb5ac, -v104
	v_add_f16_e32 v26, v106, v26
	v_add_f16_e32 v31, v102, v33
	v_sub_f16_e32 v33, v20, v25
	v_add_f16_e32 v27, v27, v28
	v_fma_f16 v28, v129, 0xbbc4, -v101
	v_add_f16_e32 v0, v29, v0
	v_fma_f16 v29, v138, 0xb5ac, -v140
	v_mul_f16_e32 v35, 0xb770, v33
	v_mul_f16_e32 v78, 0xba95, v33
	v_mul_f16_e32 v82, 0xbbf1, v33
	v_mul_f16_e32 v87, 0xbb7b, v33
	v_mul_f16_e32 v88, 0xb94e, v33
	v_mul_f16_e32 v33, 0xb3a8, v33
	v_fmamk_f16 v76, v34, 0x3b15, v35
	v_fma_f16 v35, v34, 0x3b15, -v35
	v_fmamk_f16 v80, v34, 0x388b, v78
	v_fma_f16 v78, v34, 0x388b, -v78
	v_fmamk_f16 v84, v34, 0x2fb7, v82
	v_fma_f16 v82, v34, 0x2fb7, -v82
	v_fmamk_f16 v91, v34, 0xb5ac, v87
	v_fma_f16 v87, v34, 0xb5ac, -v87
	v_fmamk_f16 v93, v34, 0xb9fd, v88
	v_fma_f16 v88, v34, 0xb9fd, -v88
	v_fmamk_f16 v95, v34, 0xbbc4, v33
	v_fma_f16 v33, v34, 0xbbc4, -v33
	v_add_f16_e32 v34, v1, v76
	v_add_f16_e32 v35, v1, v35
	;; [unrolled: 1-line block ×12, first 2 shown]
	v_lshrrev_b32_e32 v95, 16, v1
	v_add_f16_e32 v1, v1, v18
	v_sub_f16_e32 v18, v18, v23
	v_add_f16_e32 v28, v28, v32
	v_add_f16_e32 v27, v29, v27
	v_fma_f16 v29, v138, 0xb9fd, -v108
	v_add_f16_e32 v1, v1, v17
	v_fma_f16 v32, v138, 0x3b15, -v113
	v_add_f16_e32 v26, v114, v26
	v_add_f16_e64 v30, v141, v30
	v_add_f16_e32 v28, v29, v28
	v_add_f16_e32 v1, v1, v16
	;; [unrolled: 1-line block ×3, first 2 shown]
	v_fma_f16 v31, v146, 0xb9fd, -v159
	v_add_f16_e32 v0, v32, v0
	v_fma_f16 v32, v146, 0x388b, -v136
	v_add_f16_e32 v1, v1, v9
	v_add_f16_e64 v26, v137, v26
	v_add_f16_e32 v27, v31, v27
	v_fma_f16 v31, v146, 0x2fb7, -v116
	v_add_f16_e32 v0, v32, v0
	v_add_f16_e32 v1, v1, v6
	v_fma_f16 v32, v163, 0xb9fd, -v177
	v_add_f16_e32 v29, v120, v29
	;; [unrolled: 3-line block ×3, first 2 shown]
	v_add_f16_e32 v0, v32, v0
	v_add_f16_e64 v32, v178, v26
	v_add_f16_e64 v30, v160, v30
	v_add_f16_e32 v31, v31, v27
	v_add_f16_e32 v1, v1, v5
	v_fma_f16 v27, v163, 0x3b15, -v175
	v_add_f16_e64 v29, v176, v29
	v_add_f16_e64 v30, v168, v30
	v_pack_b32_f16 v0, v0, v32
	v_add_f16_e32 v1, v1, v11
	v_add_f16_e32 v28, v27, v28
	s_delay_alu instid0(VALU_DEP_2) | instskip(NEXT) | instid1(VALU_DEP_1)
	v_add_f16_e32 v1, v1, v2
	v_add_f16_e32 v1, v1, v15
	s_delay_alu instid0(VALU_DEP_1) | instskip(NEXT) | instid1(VALU_DEP_1)
	v_add_f16_e32 v1, v1, v22
	v_add_f16_e32 v1, v1, v23
	;; [unrolled: 1-line block ×4, first 2 shown]
	s_delay_alu instid0(VALU_DEP_2) | instskip(NEXT) | instid1(VALU_DEP_2)
	v_add_f16_e32 v23, v23, v19
	v_mul_f16_e32 v27, 0x388b, v20
	v_mul_f16_e32 v99, 0x2fb7, v20
	;; [unrolled: 1-line block ×4, first 2 shown]
	v_add_f16_e32 v23, v23, v14
	v_fmamk_f16 v97, v18, 0x3a95, v27
	v_fmac_f16_e32 v27, 0xba95, v18
	v_fmamk_f16 v101, v18, 0x3bf1, v99
	v_fmac_f16_e32 v99, 0xbbf1, v18
	v_add_f16_e32 v23, v23, v10
	v_fmamk_f16 v106, v18, 0x3b7b, v102
	v_fmac_f16_e32 v102, 0xbb7b, v18
	v_fmamk_f16 v108, v18, 0x394e, v104
	v_fmac_f16_e32 v104, 0xb94e, v18
	v_add_f16_e32 v23, v23, v12
	v_add_f16_e32 v27, v95, v27
	;; [unrolled: 1-line block ×6, first 2 shown]
	s_delay_alu instid0(VALU_DEP_1) | instskip(NEXT) | instid1(VALU_DEP_1)
	v_add_f16_e32 v23, v23, v8
	v_add_f16_e32 v23, v23, v13
	s_delay_alu instid0(VALU_DEP_1) | instskip(NEXT) | instid1(VALU_DEP_1)
	v_add_f16_e32 v23, v23, v3
	v_add_f16_e32 v23, v23, v21
	;; [unrolled: 3-line block ×3, first 2 shown]
	v_sub_f16_e32 v25, v19, v24
	v_add_f16_e32 v19, v19, v24
	v_mul_f16_e32 v24, 0x3b15, v20
	v_mul_f16_e32 v20, 0xbbc4, v20
	v_pack_b32_f16 v1, v1, v23
	v_add_nc_u32_e32 v23, 0x400, v127
	s_delay_alu instid0(VALU_DEP_4)
	v_fmamk_f16 v26, v18, 0x3770, v24
	v_fmac_f16_e32 v24, 0xb770, v18
	v_fmamk_f16 v110, v18, 0x33a8, v20
	v_fmac_f16_e32 v20, 0xb3a8, v18
	v_add_f16_e32 v18, v17, v22
	v_sub_f16_e32 v17, v17, v22
	v_add_f16_e32 v22, v95, v26
	v_add_f16_e32 v24, v95, v24
	v_add_f16_e32 v26, v95, v97
	v_add_f16_e32 v97, v95, v101
	v_add_f16_e32 v101, v95, v106
	v_add_f16_e32 v106, v95, v108
	v_add_f16_e32 v108, v95, v110
	v_add_f16_e32 v20, v95, v20
	v_mul_f16_e32 v95, 0xba95, v25
	s_delay_alu instid0(VALU_DEP_1) | instskip(SKIP_1) | instid1(VALU_DEP_2)
	v_fmamk_f16 v110, v18, 0x388b, v95
	v_fma_f16 v95, v18, 0x388b, -v95
	v_add_f16_e32 v34, v110, v34
	v_mul_f16_e32 v110, 0x388b, v19
	s_delay_alu instid0(VALU_DEP_3) | instskip(SKIP_1) | instid1(VALU_DEP_3)
	v_add_f16_e32 v35, v95, v35
	v_mul_f16_e32 v95, 0xbb7b, v25
	v_fmamk_f16 v113, v17, 0x3a95, v110
	v_fmac_f16_e32 v110, 0xba95, v17
	s_delay_alu instid0(VALU_DEP_2) | instskip(NEXT) | instid1(VALU_DEP_2)
	v_add_f16_e32 v22, v113, v22
	v_add_f16_e32 v24, v110, v24
	v_fmamk_f16 v110, v18, 0xb5ac, v95
	v_fma_f16 v95, v18, 0xb5ac, -v95
	s_delay_alu instid0(VALU_DEP_2) | instskip(SKIP_1) | instid1(VALU_DEP_3)
	v_add_f16_e32 v76, v110, v76
	v_mul_f16_e32 v110, 0xb5ac, v19
	v_add_f16_e32 v78, v95, v78
	v_mul_f16_e32 v95, 0xb3a8, v25
	s_delay_alu instid0(VALU_DEP_3) | instskip(SKIP_1) | instid1(VALU_DEP_2)
	v_fmamk_f16 v113, v17, 0x3b7b, v110
	v_fmac_f16_e32 v110, 0xbb7b, v17
	v_add_f16_e32 v26, v113, v26
	s_delay_alu instid0(VALU_DEP_2) | instskip(SKIP_2) | instid1(VALU_DEP_2)
	v_add_f16_e32 v27, v110, v27
	v_fmamk_f16 v110, v18, 0xbbc4, v95
	v_fma_f16 v95, v18, 0xbbc4, -v95
	v_add_f16_e32 v80, v110, v80
	v_mul_f16_e32 v110, 0xbbc4, v19
	s_delay_alu instid0(VALU_DEP_3) | instskip(NEXT) | instid1(VALU_DEP_2)
	v_add_f16_e32 v82, v95, v82
	v_fmamk_f16 v113, v17, 0x33a8, v110
	v_fmac_f16_e32 v110, 0xb3a8, v17
	s_delay_alu instid0(VALU_DEP_2) | instskip(NEXT) | instid1(VALU_DEP_2)
	v_add_f16_e32 v97, v113, v97
	v_add_f16_e32 v95, v110, v99
	v_mul_f16_e32 v99, 0x394e, v25
	s_delay_alu instid0(VALU_DEP_1) | instskip(SKIP_1) | instid1(VALU_DEP_2)
	v_fmamk_f16 v110, v18, 0xb9fd, v99
	v_fma_f16 v99, v18, 0xb9fd, -v99
	v_add_f16_e32 v84, v110, v84
	v_mul_f16_e32 v110, 0xb9fd, v19
	s_delay_alu instid0(VALU_DEP_3) | instskip(NEXT) | instid1(VALU_DEP_2)
	v_add_f16_e32 v87, v99, v87
	v_fmamk_f16 v113, v17, 0xb94e, v110
	v_fmac_f16_e32 v110, 0x394e, v17
	s_delay_alu instid0(VALU_DEP_2) | instskip(NEXT) | instid1(VALU_DEP_2)
	v_add_f16_e32 v101, v113, v101
	v_add_f16_e32 v99, v110, v102
	v_mul_f16_e32 v102, 0x3bf1, v25
	v_mul_f16_e32 v25, 0x3770, v25
	s_delay_alu instid0(VALU_DEP_2) | instskip(SKIP_1) | instid1(VALU_DEP_2)
	v_fmamk_f16 v110, v18, 0x2fb7, v102
	v_fma_f16 v102, v18, 0x2fb7, -v102
	v_add_f16_e32 v91, v110, v91
	v_mul_f16_e32 v110, 0x2fb7, v19
	s_delay_alu instid0(VALU_DEP_3) | instskip(SKIP_1) | instid1(VALU_DEP_3)
	v_add_f16_e32 v88, v102, v88
	v_mul_f16_e32 v19, 0x3b15, v19
	v_fmamk_f16 v113, v17, 0xbbf1, v110
	v_fmac_f16_e32 v110, 0x3bf1, v17
	s_delay_alu instid0(VALU_DEP_2) | instskip(NEXT) | instid1(VALU_DEP_2)
	v_add_f16_e32 v106, v113, v106
	v_add_f16_e32 v102, v110, v104
	v_fmamk_f16 v104, v18, 0x3b15, v25
	v_fma_f16 v18, v18, 0x3b15, -v25
	s_delay_alu instid0(VALU_DEP_2)
	v_add_f16_e32 v93, v104, v93
	v_sub_f16_e32 v104, v14, v21
	v_add_f16_e32 v14, v14, v21
	v_fmamk_f16 v21, v17, 0xb770, v19
	v_fmac_f16_e32 v19, 0x3770, v17
	v_add_f16_e32 v17, v16, v15
	v_sub_f16_e32 v15, v16, v15
	v_mul_f16_e32 v25, 0x2fb7, v14
	v_add_f16_e32 v16, v21, v108
	v_add_f16_e32 v19, v19, v20
	v_mul_f16_e32 v20, 0xbbf1, v104
	v_add_f16_e32 v18, v18, v33
	v_fmamk_f16 v33, v15, 0x3bf1, v25
	v_fmac_f16_e32 v25, 0xbbf1, v15
	s_delay_alu instid0(VALU_DEP_4) | instskip(SKIP_1) | instid1(VALU_DEP_4)
	v_fmamk_f16 v21, v17, 0x2fb7, v20
	v_fma_f16 v20, v17, 0x2fb7, -v20
	v_add_f16_e32 v22, v33, v22
	s_delay_alu instid0(VALU_DEP_4) | instskip(SKIP_4) | instid1(VALU_DEP_4)
	v_add_f16_e32 v24, v25, v24
	v_mul_f16_e32 v25, 0xb3a8, v104
	v_add_f16_e32 v21, v21, v34
	v_mul_f16_e32 v34, 0xbbc4, v14
	v_add_f16_e32 v20, v20, v35
	v_fmamk_f16 v33, v17, 0xbbc4, v25
	v_fma_f16 v25, v17, 0xbbc4, -v25
	s_delay_alu instid0(VALU_DEP_4) | instskip(SKIP_1) | instid1(VALU_DEP_4)
	v_fmamk_f16 v35, v15, 0x33a8, v34
	v_fmac_f16_e32 v34, 0xb3a8, v15
	v_add_f16_e32 v33, v33, v76
	v_mul_f16_e32 v76, 0xb5ac, v14
	s_delay_alu instid0(VALU_DEP_4) | instskip(NEXT) | instid1(VALU_DEP_4)
	v_add_f16_e32 v26, v35, v26
	v_add_f16_e32 v27, v34, v27
	v_mul_f16_e32 v34, 0x3b7b, v104
	v_add_f16_e32 v25, v25, v78
	v_fmamk_f16 v78, v15, 0xbb7b, v76
	v_fmac_f16_e32 v76, 0x3b7b, v15
	s_delay_alu instid0(VALU_DEP_4) | instskip(SKIP_1) | instid1(VALU_DEP_4)
	v_fmamk_f16 v35, v17, 0xb5ac, v34
	v_fma_f16 v34, v17, 0xb5ac, -v34
	v_add_f16_e32 v78, v78, v97
	s_delay_alu instid0(VALU_DEP_4) | instskip(NEXT) | instid1(VALU_DEP_4)
	v_add_f16_e32 v76, v76, v95
	v_add_f16_e32 v35, v35, v80
	v_mul_f16_e32 v80, 0x3770, v104
	v_add_f16_e32 v34, v34, v82
	s_delay_alu instid0(VALU_DEP_2) | instskip(SKIP_1) | instid1(VALU_DEP_2)
	v_fmamk_f16 v82, v17, 0x3b15, v80
	v_fma_f16 v80, v17, 0x3b15, -v80
	v_add_f16_e32 v82, v82, v84
	s_delay_alu instid0(VALU_DEP_2) | instskip(SKIP_2) | instid1(VALU_DEP_2)
	v_add_f16_e32 v80, v80, v87
	v_mul_f16_e32 v87, 0xba95, v104
	v_mul_f16_e32 v84, 0x3b15, v14
	v_fmamk_f16 v97, v17, 0x388b, v87
	s_delay_alu instid0(VALU_DEP_2) | instskip(SKIP_2) | instid1(VALU_DEP_4)
	v_fmamk_f16 v95, v15, 0xb770, v84
	v_fmac_f16_e32 v84, 0x3770, v15
	v_fma_f16 v87, v17, 0x388b, -v87
	v_add_f16_e32 v91, v97, v91
	v_mul_f16_e32 v97, 0x388b, v14
	s_delay_alu instid0(VALU_DEP_4) | instskip(NEXT) | instid1(VALU_DEP_4)
	v_add_f16_e32 v84, v84, v99
	v_add_f16_e32 v87, v87, v88
	;; [unrolled: 1-line block ×3, first 2 shown]
	v_mul_f16_e32 v14, 0xb9fd, v14
	v_fmamk_f16 v99, v15, 0x3a95, v97
	v_fmac_f16_e32 v97, 0xba95, v15
	s_delay_alu instid0(VALU_DEP_2) | instskip(NEXT) | instid1(VALU_DEP_2)
	v_add_f16_e32 v99, v99, v106
	v_add_f16_e32 v88, v97, v102
	v_mul_f16_e32 v97, 0xb94e, v104
	s_delay_alu instid0(VALU_DEP_1) | instskip(NEXT) | instid1(VALU_DEP_1)
	v_fmamk_f16 v101, v17, 0xb9fd, v97
	v_add_f16_e32 v93, v101, v93
	v_sub_f16_e32 v101, v10, v3
	v_add_f16_e32 v3, v10, v3
	v_fma_f16 v10, v17, 0xb9fd, -v97
	v_fmamk_f16 v17, v15, 0x394e, v14
	v_fmac_f16_e32 v14, 0xb94e, v15
	v_add_f16_e32 v15, v9, v2
	v_sub_f16_e32 v2, v9, v2
	v_add_f16_e32 v10, v10, v18
	v_add_f16_e32 v9, v17, v16
	v_mul_f16_e32 v16, 0xbb7b, v101
	v_mul_f16_e32 v18, 0xb5ac, v3
	v_add_f16_e32 v14, v14, v19
	s_delay_alu instid0(VALU_DEP_3) | instskip(SKIP_1) | instid1(VALU_DEP_4)
	v_fmamk_f16 v17, v15, 0xb5ac, v16
	v_fma_f16 v16, v15, 0xb5ac, -v16
	v_fmamk_f16 v19, v2, 0x3b7b, v18
	v_fmac_f16_e32 v18, 0xbb7b, v2
	s_delay_alu instid0(VALU_DEP_4) | instskip(NEXT) | instid1(VALU_DEP_4)
	v_add_f16_e32 v17, v17, v21
	v_add_f16_e32 v16, v16, v20
	v_mul_f16_e32 v20, 0x394e, v101
	v_add_f16_e32 v19, v19, v22
	v_mul_f16_e32 v22, 0xb9fd, v3
	v_add_f16_e32 v18, v18, v24
	s_delay_alu instid0(VALU_DEP_4) | instskip(SKIP_1) | instid1(VALU_DEP_4)
	v_fmamk_f16 v21, v15, 0xb9fd, v20
	v_fma_f16 v20, v15, 0xb9fd, -v20
	v_fmamk_f16 v24, v2, 0xb94e, v22
	v_fmac_f16_e32 v22, 0x394e, v2
	s_delay_alu instid0(VALU_DEP_4) | instskip(NEXT) | instid1(VALU_DEP_4)
	v_add_f16_e32 v21, v21, v33
	v_add_f16_e32 v20, v20, v25
	v_mul_f16_e32 v25, 0x3770, v101
	v_add_f16_e32 v24, v24, v26
	v_add_f16_e32 v22, v22, v27
	v_mul_f16_e32 v27, 0x3b15, v3
	s_delay_alu instid0(VALU_DEP_4) | instskip(SKIP_1) | instid1(VALU_DEP_3)
	v_fmamk_f16 v26, v15, 0x3b15, v25
	v_fma_f16 v25, v15, 0x3b15, -v25
	v_fmamk_f16 v33, v2, 0xb770, v27
	v_fmac_f16_e32 v27, 0x3770, v2
	s_delay_alu instid0(VALU_DEP_4) | instskip(NEXT) | instid1(VALU_DEP_4)
	v_add_f16_e32 v26, v26, v35
	v_add_f16_e32 v25, v25, v34
	v_mul_f16_e32 v34, 0xbbf1, v101
	v_add_f16_e32 v33, v33, v78
	v_add_f16_e32 v27, v27, v76
	v_mul_f16_e32 v76, 0x2fb7, v3
	s_delay_alu instid0(VALU_DEP_4) | instskip(SKIP_1) | instid1(VALU_DEP_3)
	v_fmamk_f16 v35, v15, 0x2fb7, v34
	v_fma_f16 v34, v15, 0x2fb7, -v34
	v_fmamk_f16 v78, v2, 0x3bf1, v76
	v_fmac_f16_e32 v76, 0xbbf1, v2
	s_delay_alu instid0(VALU_DEP_4) | instskip(NEXT) | instid1(VALU_DEP_4)
	v_add_f16_e32 v35, v35, v82
	v_add_f16_e32 v34, v34, v80
	v_mul_f16_e32 v80, 0x33a8, v101
	v_add_f16_e32 v78, v78, v95
	v_add_f16_e32 v76, v76, v84
	v_mul_f16_e32 v84, 0xbbc4, v3
	v_mul_f16_e32 v3, 0x388b, v3
	v_fmamk_f16 v82, v15, 0xbbc4, v80
	v_fma_f16 v80, v15, 0xbbc4, -v80
	s_delay_alu instid0(VALU_DEP_2) | instskip(SKIP_1) | instid1(VALU_DEP_3)
	v_add_f16_e32 v82, v82, v91
	v_fmamk_f16 v91, v2, 0xb3a8, v84
	v_add_f16_e32 v80, v80, v87
	v_fmac_f16_e32 v84, 0x33a8, v2
	v_mul_f16_e32 v87, 0x3a95, v101
	s_delay_alu instid0(VALU_DEP_4) | instskip(NEXT) | instid1(VALU_DEP_3)
	v_add_f16_e32 v91, v91, v99
	v_add_f16_e32 v84, v84, v88
	s_delay_alu instid0(VALU_DEP_3) | instskip(NEXT) | instid1(VALU_DEP_1)
	v_fmamk_f16 v88, v15, 0x388b, v87
	v_add_f16_e32 v88, v88, v93
	v_sub_f16_e32 v93, v12, v13
	v_add_f16_e32 v12, v12, v13
	v_fma_f16 v13, v15, 0x388b, -v87
	v_fmamk_f16 v15, v2, 0xba95, v3
	v_fmac_f16_e32 v3, 0x3a95, v2
	v_add_f16_e32 v2, v6, v11
	v_sub_f16_e32 v6, v6, v11
	v_mul_f16_e32 v11, 0xb94e, v93
	v_add_f16_e32 v9, v15, v9
	v_add_f16_e32 v3, v3, v14
	v_mul_f16_e32 v14, 0xb9fd, v12
	v_add_f16_e32 v10, v13, v10
	v_fmamk_f16 v13, v2, 0xb9fd, v11
	v_fma_f16 v11, v2, 0xb9fd, -v11
	s_delay_alu instid0(VALU_DEP_4) | instskip(SKIP_1) | instid1(VALU_DEP_4)
	v_fmamk_f16 v15, v6, 0x394e, v14
	v_fmac_f16_e32 v14, 0xb94e, v6
	v_add_f16_e32 v13, v13, v17
	s_delay_alu instid0(VALU_DEP_4) | instskip(SKIP_4) | instid1(VALU_DEP_4)
	v_add_f16_e32 v11, v11, v16
	v_mul_f16_e32 v16, 0x3bf1, v93
	v_add_f16_e32 v15, v15, v19
	v_add_f16_e32 v14, v14, v18
	v_mul_f16_e32 v18, 0x2fb7, v12
	v_fmamk_f16 v17, v2, 0x2fb7, v16
	v_fma_f16 v16, v2, 0x2fb7, -v16
	s_delay_alu instid0(VALU_DEP_3) | instskip(SKIP_1) | instid1(VALU_DEP_4)
	v_fmamk_f16 v19, v6, 0xbbf1, v18
	v_fmac_f16_e32 v18, 0x3bf1, v6
	v_add_f16_e32 v17, v17, v21
	s_delay_alu instid0(VALU_DEP_4) | instskip(SKIP_4) | instid1(VALU_DEP_4)
	v_add_f16_e32 v16, v16, v20
	v_mul_f16_e32 v20, 0xba95, v93
	v_add_f16_e32 v19, v19, v24
	v_add_f16_e32 v18, v18, v22
	v_mul_f16_e32 v22, 0x388b, v12
	v_fmamk_f16 v21, v2, 0x388b, v20
	v_fma_f16 v20, v2, 0x388b, -v20
	s_delay_alu instid0(VALU_DEP_3) | instskip(SKIP_1) | instid1(VALU_DEP_4)
	v_fmamk_f16 v24, v6, 0x3a95, v22
	v_fmac_f16_e32 v22, 0xba95, v6
	v_add_f16_e32 v21, v21, v26
	s_delay_alu instid0(VALU_DEP_4) | instskip(NEXT) | instid1(VALU_DEP_4)
	v_add_f16_e32 v20, v20, v25
	v_add_f16_e32 v33, v24, v33
	v_mul_f16_e32 v24, 0x33a8, v93
	v_add_f16_e32 v22, v22, v27
	s_delay_alu instid0(VALU_DEP_2) | instskip(SKIP_1) | instid1(VALU_DEP_2)
	v_fmamk_f16 v25, v2, 0xbbc4, v24
	v_fma_f16 v24, v2, 0xbbc4, -v24
	v_add_f16_e32 v35, v25, v35
	v_mul_f16_e32 v25, 0xbbc4, v12
	s_delay_alu instid0(VALU_DEP_3) | instskip(SKIP_1) | instid1(VALU_DEP_3)
	v_add_f16_e32 v34, v24, v34
	v_mul_f16_e32 v24, 0x3770, v93
	v_fmamk_f16 v26, v6, 0xb3a8, v25
	v_fmac_f16_e32 v25, 0x33a8, v6
	s_delay_alu instid0(VALU_DEP_2) | instskip(NEXT) | instid1(VALU_DEP_2)
	v_add_f16_e32 v78, v26, v78
	v_add_f16_e32 v76, v25, v76
	v_fmamk_f16 v25, v2, 0x3b15, v24
	v_fma_f16 v24, v2, 0x3b15, -v24
	s_delay_alu instid0(VALU_DEP_2) | instskip(SKIP_1) | instid1(VALU_DEP_3)
	v_add_f16_e32 v82, v25, v82
	v_mul_f16_e32 v25, 0x3b15, v12
	v_add_f16_e32 v80, v24, v80
	v_mul_f16_e32 v24, 0xbb7b, v93
	s_delay_alu instid0(VALU_DEP_3) | instskip(SKIP_1) | instid1(VALU_DEP_2)
	v_fmamk_f16 v26, v6, 0xb770, v25
	v_fmac_f16_e32 v25, 0x3770, v6
	v_add_f16_e32 v87, v26, v91
	v_sub_f16_e32 v91, v7, v8
	v_add_f16_e32 v7, v7, v8
	v_mul_f16_e32 v8, 0xb5ac, v12
	v_add_f16_e32 v84, v25, v84
	v_fmamk_f16 v25, v2, 0xb5ac, v24
	v_fma_f16 v2, v2, 0xb5ac, -v24
	s_delay_alu instid0(VALU_DEP_4)
	v_fmamk_f16 v12, v6, 0x3b7b, v8
	v_fmac_f16_e32 v8, 0xbb7b, v6
	v_add_f16_e32 v6, v4, v5
	v_sub_f16_e32 v4, v4, v5
	v_add_f16_e32 v2, v2, v10
	v_add_f16_e32 v5, v12, v9
	;; [unrolled: 1-line block ×3, first 2 shown]
	v_mul_f16_e32 v8, 0xb3a8, v91
	v_mul_f16_e32 v10, 0xbbc4, v7
	v_add_f16_e32 v88, v25, v88
	s_delay_alu instid0(VALU_DEP_3) | instskip(SKIP_1) | instid1(VALU_DEP_4)
	v_fmamk_f16 v9, v6, 0xbbc4, v8
	v_fma_f16 v8, v6, 0xbbc4, -v8
	v_fmamk_f16 v12, v4, 0x33a8, v10
	v_fmac_f16_e32 v10, 0xb3a8, v4
	s_delay_alu instid0(VALU_DEP_4) | instskip(NEXT) | instid1(VALU_DEP_4)
	v_add_f16_e32 v9, v9, v13
	v_add_f16_e32 v25, v8, v11
	v_mul_f16_e32 v8, 0x3770, v91
	s_delay_alu instid0(VALU_DEP_4)
	v_add_f16_e32 v27, v10, v14
	v_mul_f16_e32 v11, 0x3b15, v7
	v_mul_f16_e32 v14, 0xb9fd, v7
	v_add_f16_e32 v12, v12, v15
	v_fmamk_f16 v10, v6, 0x3b15, v8
	v_fma_f16 v8, v6, 0x3b15, -v8
	v_fmamk_f16 v13, v4, 0xb770, v11
	v_fmac_f16_e32 v11, 0x3770, v4
	v_fmamk_f16 v15, v4, 0x394e, v14
	v_add_f16_e32 v10, v10, v17
	v_add_f16_e32 v24, v8, v16
	v_mul_f16_e32 v8, 0xb94e, v91
	v_mul_f16_e32 v16, 0x3a95, v91
	v_add_f16_e32 v26, v11, v18
	v_fmac_f16_e32 v14, 0xb94e, v4
	v_mul_f16_e32 v18, 0x388b, v7
	v_fmamk_f16 v11, v6, 0xb9fd, v8
	v_fma_f16 v8, v6, 0xb9fd, -v8
	v_fmamk_f16 v17, v6, 0x388b, v16
	v_fma_f16 v16, v6, 0x388b, -v16
	v_add_f16_e32 v14, v14, v22
	v_mul_f16_e32 v22, 0xb5ac, v7
	v_add_f16_e32 v8, v8, v20
	v_mul_f16_e32 v20, 0xbb7b, v91
	;; [unrolled: 2-line block ×3, first 2 shown]
	v_mul_f16_e32 v7, 0x2fb7, v7
	v_add_f16_e32 v13, v13, v19
	v_add_f16_e32 v11, v11, v21
	;; [unrolled: 1-line block ×4, first 2 shown]
	v_fmamk_f16 v19, v4, 0xba95, v18
	v_fmamk_f16 v21, v6, 0xb5ac, v20
	;; [unrolled: 1-line block ×3, first 2 shown]
	v_fma_f16 v20, v6, 0xb5ac, -v20
	v_fmamk_f16 v35, v6, 0x2fb7, v34
	v_fma_f16 v6, v6, 0x2fb7, -v34
	v_fmac_f16_e32 v22, 0xbb7b, v4
	v_fmamk_f16 v34, v4, 0xbbf1, v7
	v_fmac_f16_e32 v7, 0x3bf1, v4
	v_fmac_f16_e32 v18, 0x3a95, v4
	v_add_f16_e32 v19, v19, v78
	v_add_f16_e32 v21, v21, v82
	;; [unrolled: 1-line block ×4, first 2 shown]
	v_pack_b32_f16 v6, v28, v29
	v_add_f16_e32 v4, v22, v84
	v_add_f16_e32 v22, v35, v88
	;; [unrolled: 1-line block ×3, first 2 shown]
	v_pack_b32_f16 v28, v31, v30
	v_add_f16_e32 v3, v7, v3
	v_add_f16_e32 v18, v18, v76
	;; [unrolled: 1-line block ×3, first 2 shown]
	v_pack_b32_f16 v9, v9, v12
	v_pack_b32_f16 v10, v10, v13
	;; [unrolled: 1-line block ×3, first 2 shown]
	ds_store_2addr_b32 v23, v0, v6 offset0:4 offset1:30
	ds_store_b32 v127, v28 offset:1248
	ds_store_2addr_b32 v131, v1, v9 offset1:26
	ds_store_2addr_b32 v131, v10, v11 offset0:52 offset1:78
	v_pack_b32_f16 v0, v17, v19
	v_pack_b32_f16 v1, v21, v33
	;; [unrolled: 1-line block ×8, first 2 shown]
	v_add_nc_u32_e32 v8, 0x400, v131
	v_pack_b32_f16 v9, v25, v27
	ds_store_2addr_b32 v131, v0, v1 offset0:104 offset1:130
	ds_store_2addr_b32 v131, v5, v2 offset0:156 offset1:182
	;; [unrolled: 1-line block ×4, first 2 shown]
	ds_store_b32 v131, v9 offset:1248
	global_wb scope:SCOPE_SE
	s_wait_dscnt 0x0
	s_barrier_signal -1
	s_barrier_wait -1
	global_inv scope:SCOPE_SE
	ds_load_2addr_b32 v[4:5], v72 offset1:52
	ds_load_2addr_b32 v[22:23], v166 offset0:82 offset1:134
	ds_load_2addr_b32 v[20:21], v58 offset0:164 offset1:216
	ds_load_2addr_b32 v[18:19], v59 offset0:118 offset1:170
	ds_load_2addr_b32 v[2:3], v72 offset0:104 offset1:156
	ds_load_2addr_b32 v[16:17], v166 offset0:186 offset1:238
	ds_load_2addr_b32 v[14:15], v171 offset0:12 offset1:64
	ds_load_2addr_b32 v[12:13], v165 offset0:94 offset1:146
	ds_load_2addr_b32 v[0:1], v174 offset0:80 offset1:132
	ds_load_2addr_b32 v[10:11], v58 offset0:34 offset1:86
	ds_load_2addr_b32 v[8:9], v171 offset0:116 offset1:168
	ds_load_2addr_b32 v[6:7], v165 offset0:198 offset1:250
	s_and_saveexec_b32 s0, vcc_lo
	s_cbranch_execz .LBB0_7
; %bb.6:
	ds_load_b32 v24, v72 offset:1248
	ds_load_b32 v25, v72 offset:2600
	;; [unrolled: 1-line block ×4, first 2 shown]
	s_wait_dscnt 0x3
	v_lshrrev_b32_e32 v26, 16, v24
	s_wait_dscnt 0x2
	v_lshrrev_b32_e32 v27, 16, v25
	;; [unrolled: 2-line block ×4, first 2 shown]
.LBB0_7:
	s_wait_alu 0xfffe
	s_or_b32 exec_lo, exec_lo, s0
	s_wait_dscnt 0xa
	v_lshrrev_b32_e32 v29, 16, v22
	s_wait_dscnt 0x9
	v_lshrrev_b32_e32 v30, 16, v20
	;; [unrolled: 2-line block ×3, first 2 shown]
	v_lshrrev_b32_e32 v33, 16, v23
	v_lshrrev_b32_e32 v34, 16, v21
	v_mul_f16_e64 v102, v144, v29
	v_mul_f16_e64 v104, v144, v22
	;; [unrolled: 1-line block ×4, first 2 shown]
	v_lshrrev_b32_e32 v35, 16, v19
	s_wait_dscnt 0x6
	v_lshrrev_b32_e32 v59, 16, v16
	v_fmac_f16_e32 v102, v36, v22
	v_fma_f16 v22, v36, v29, -v104
	v_fmac_f16_e32 v106, v37, v20
	v_fma_f16 v20, v37, v30, -v108
	v_mul_f16_e64 v29, v148, v31
	v_mul_f16_e64 v30, v148, v18
	;; [unrolled: 1-line block ×4, first 2 shown]
	v_mul_f16_e32 v104, v70, v34
	s_wait_dscnt 0x5
	v_lshrrev_b32_e32 v76, 16, v14
	s_wait_dscnt 0x4
	v_lshrrev_b32_e32 v78, 16, v12
	v_fmac_f16_e32 v29, v38, v18
	v_fma_f16 v18, v38, v31, -v30
	v_fmac_f16_e32 v36, v39, v23
	v_fma_f16 v23, v39, v33, -v37
	v_fmac_f16_e32 v104, v40, v21
	v_mul_f16_e32 v21, v70, v21
	v_mul_f16_e32 v30, v71, v35
	;; [unrolled: 1-line block ×3, first 2 shown]
	v_mul_f16_e64 v33, v151, v59
	v_mul_f16_e64 v37, v151, v16
	v_lshrrev_b32_e32 v84, 16, v15
	v_lshrrev_b32_e32 v87, 16, v13
	v_fma_f16 v21, v40, v34, -v21
	v_fmac_f16_e32 v30, v41, v19
	v_fma_f16 v19, v41, v35, -v31
	v_fmac_f16_e32 v33, v45, v16
	v_fma_f16 v16, v45, v59, -v37
	v_mul_f16_e64 v31, v149, v76
	v_mul_f16_e64 v34, v149, v14
	;; [unrolled: 1-line block ×4, first 2 shown]
	v_lshrrev_b32_e32 v82, 16, v17
	s_wait_dscnt 0x2
	v_lshrrev_b32_e32 v91, 16, v10
	s_wait_dscnt 0x1
	v_lshrrev_b32_e32 v93, 16, v8
	v_fmac_f16_e32 v31, v46, v14
	v_fma_f16 v14, v46, v76, -v34
	v_fmac_f16_e32 v35, v47, v12
	v_fma_f16 v12, v47, v78, -v37
	v_mul_f16_e32 v34, v67, v84
	v_mul_f16_e32 v37, v67, v15
	v_mul_f16_e64 v39, v153, v87
	v_mul_f16_e64 v40, v153, v13
	v_lshrrev_b32_e32 v99, 16, v11
	v_mul_f16_e64 v38, v152, v82
	v_fmac_f16_e32 v34, v49, v15
	v_fma_f16 v15, v49, v84, -v37
	v_fmac_f16_e32 v39, v50, v13
	v_fma_f16 v13, v50, v87, -v40
	v_mul_f16_e32 v37, v69, v91
	v_mul_f16_e32 v40, v69, v10
	v_mul_f16_e64 v41, v154, v93
	v_mul_f16_e64 v45, v154, v8
	v_lshrrev_b32_e32 v101, 16, v9
	v_fmac_f16_e32 v38, v48, v17
	v_mul_f16_e64 v17, v152, v17
	v_fmac_f16_e32 v37, v51, v10
	v_fma_f16 v10, v51, v91, -v40
	v_fmac_f16_e32 v41, v52, v8
	v_fma_f16 v8, v52, v93, -v45
	v_mul_f16_e64 v40, v157, v99
	v_mul_f16_e64 v45, v157, v11
	s_wait_dscnt 0x0
	v_lshrrev_b32_e32 v110, 16, v7
	v_fma_f16 v17, v48, v82, -v17
	v_mul_f16_e64 v47, v158, v101
	v_mul_f16_e64 v48, v158, v9
	v_fmac_f16_e32 v40, v54, v11
	v_fma_f16 v11, v54, v99, -v45
	v_sub_f16_e32 v45, v4, v106
	v_sub_f16_e32 v29, v102, v29
	v_lshrrev_b32_e32 v95, 16, v6
	v_lshrrev_b32_e32 v28, 16, v4
	;; [unrolled: 1-line block ×3, first 2 shown]
	v_fmac_f16_e32 v47, v55, v9
	v_fma_f16 v9, v55, v101, -v48
	v_mul_f16_e64 v48, v155, v110
	v_mul_f16_e64 v49, v155, v7
	v_fma_f16 v4, v4, 2.0, -v45
	v_fma_f16 v50, v102, 2.0, -v29
	v_mul_f16_e32 v46, v68, v95
	v_lshrrev_b32_e32 v58, 16, v2
	v_sub_f16_e32 v20, v28, v20
	v_sub_f16_e32 v18, v22, v18
	v_fmac_f16_e32 v48, v56, v7
	v_fma_f16 v7, v56, v110, -v49
	v_sub_f16_e32 v49, v4, v50
	v_sub_f16_e32 v50, v5, v104
	;; [unrolled: 1-line block ×5, first 2 shown]
	v_lshrrev_b32_e32 v80, 16, v3
	v_fmac_f16_e32 v46, v53, v6
	v_mul_f16_e32 v6, v68, v6
	v_fma_f16 v28, v28, 2.0, -v20
	v_fma_f16 v22, v22, 2.0, -v18
	;; [unrolled: 1-line block ×6, first 2 shown]
	v_add_f16_e32 v18, v45, v18
	v_sub_f16_e32 v29, v20, v29
	v_sub_f16_e32 v31, v2, v31
	;; [unrolled: 1-line block ×5, first 2 shown]
	v_lshrrev_b32_e32 v88, 16, v0
	v_lshrrev_b32_e32 v97, 16, v1
	v_fma_f16 v6, v53, v95, -v6
	v_sub_f16_e32 v34, v3, v34
	v_sub_f16_e32 v39, v38, v39
	;; [unrolled: 1-line block ×7, first 2 shown]
	v_fma_f16 v45, v45, 2.0, -v18
	v_fma_f16 v20, v20, 2.0, -v29
	v_add_f16_e32 v19, v50, v19
	v_fma_f16 v2, v2, 2.0, -v31
	v_fma_f16 v33, v33, 2.0, -v35
	v_sub_f16_e32 v30, v21, v30
	v_fma_f16 v51, v58, 2.0, -v14
	v_fma_f16 v16, v16, 2.0, -v12
	v_add_f16_e32 v12, v31, v12
	v_sub_f16_e32 v35, v14, v35
	v_fma_f16 v3, v3, 2.0, -v34
	v_fma_f16 v38, v38, 2.0, -v39
	;; [unrolled: 1-line block ×4, first 2 shown]
	v_sub_f16_e32 v41, v0, v41
	v_sub_f16_e32 v8, v88, v8
	;; [unrolled: 1-line block ×8, first 2 shown]
	v_fma_f16 v4, v4, 2.0, -v49
	v_fma_f16 v28, v28, 2.0, -v22
	;; [unrolled: 1-line block ×5, first 2 shown]
	v_sub_f16_e32 v33, v2, v33
	v_fma_f16 v21, v21, 2.0, -v30
	v_sub_f16_e32 v16, v51, v16
	v_fma_f16 v31, v31, 2.0, -v12
	v_fma_f16 v14, v14, 2.0, -v35
	v_pack_b32_f16 v20, v45, v20
	v_sub_f16_e32 v38, v3, v38
	v_sub_f16_e32 v17, v52, v17
	v_fma_f16 v0, v0, 2.0, -v41
	v_fma_f16 v53, v88, 2.0, -v8
	v_fma_f16 v37, v37, 2.0, -v46
	v_fma_f16 v10, v10, 2.0, -v6
	v_fma_f16 v1, v1, 2.0, -v47
	v_fma_f16 v54, v97, 2.0, -v9
	v_fma_f16 v40, v40, 2.0, -v48
	v_fma_f16 v11, v11, 2.0, -v7
	v_pack_b32_f16 v22, v49, v22
	v_pack_b32_f16 v18, v18, v29
	v_fma_f16 v2, v2, 2.0, -v33
	v_fma_f16 v51, v51, 2.0, -v16
	v_add_f16_e32 v13, v34, v13
	v_sub_f16_e32 v39, v15, v39
	v_add_f16_e32 v6, v41, v6
	v_sub_f16_e32 v46, v8, v46
	v_pack_b32_f16 v28, v4, v28
	ds_store_b32 v72, v20 offset:1352
	ds_store_b32 v72, v22 offset:2704
	;; [unrolled: 1-line block ×3, first 2 shown]
	v_pack_b32_f16 v5, v5, v32
	v_pack_b32_f16 v20, v50, v21
	;; [unrolled: 1-line block ×3, first 2 shown]
	v_add_nc_u32_e32 v4, 0x400, v72
	v_fma_f16 v3, v3, 2.0, -v38
	v_fma_f16 v52, v52, 2.0, -v17
	v_sub_f16_e32 v37, v0, v37
	v_sub_f16_e32 v10, v53, v10
	;; [unrolled: 1-line block ×4, first 2 shown]
	v_pack_b32_f16 v18, v36, v23
	v_add_f16_e32 v7, v47, v7
	v_sub_f16_e32 v48, v9, v48
	v_fma_f16 v34, v34, 2.0, -v13
	v_fma_f16 v15, v15, 2.0, -v39
	;; [unrolled: 1-line block ×4, first 2 shown]
	ds_store_2addr_b32 v72, v28, v5 offset1:52
	ds_store_b32 v72, v18 offset:2912
	v_pack_b32_f16 v18, v19, v30
	v_pack_b32_f16 v19, v2, v51
	ds_store_2addr_b32 v4, v20, v14 offset0:134 offset1:186
	v_pack_b32_f16 v14, v33, v16
	v_pack_b32_f16 v12, v12, v35
	v_add_nc_u32_e32 v2, 0x1000, v72
	v_pack_b32_f16 v16, v38, v17
	v_add_nc_u32_e32 v5, 0xc00, v72
	v_fma_f16 v0, v0, 2.0, -v37
	v_fma_f16 v53, v53, 2.0, -v10
	;; [unrolled: 1-line block ×4, first 2 shown]
	v_pack_b32_f16 v3, v3, v52
	v_pack_b32_f16 v13, v13, v39
	v_fma_f16 v47, v47, 2.0, -v7
	v_fma_f16 v9, v9, 2.0, -v48
	ds_store_2addr_b32 v2, v18, v12 offset0:42 offset1:94
	ds_store_2addr_b32 v72, v19, v3 offset0:104 offset1:156
	v_pack_b32_f16 v3, v34, v15
	ds_store_2addr_b32 v5, v14, v16 offset0:12 offset1:64
	ds_store_b32 v72, v13 offset:4680
	v_pack_b32_f16 v8, v41, v8
	v_add_nc_u32_e32 v12, 0x600, v72
	v_pack_b32_f16 v13, v6, v46
	v_add_nc_u32_e32 v6, 0x200, v72
	v_pack_b32_f16 v0, v0, v53
	v_pack_b32_f16 v1, v1, v54
	v_pack_b32_f16 v9, v47, v9
	v_pack_b32_f16 v10, v37, v10
	v_pack_b32_f16 v11, v40, v11
	v_pack_b32_f16 v7, v7, v48
	ds_store_2addr_b32 v12, v3, v8 offset0:110 offset1:162
	ds_store_2addr_b32 v6, v0, v1 offset0:80 offset1:132
	ds_store_b32 v72, v9 offset:2392
	ds_store_2addr_b32 v5, v10, v11 offset0:116 offset1:168
	ds_store_2addr_b32 v2, v13, v7 offset0:198 offset1:250
	s_and_saveexec_b32 s0, vcc_lo
	s_cbranch_execz .LBB0_9
; %bb.8:
	v_mul_f16_e32 v0, v62, v66
	v_mul_f16_e32 v1, v60, v25
	;; [unrolled: 1-line block ×6, first 2 shown]
	v_fmac_f16_e32 v0, v43, v64
	v_fma_f16 v1, v42, v27, -v1
	v_fmac_f16_e32 v7, v42, v25
	v_fmac_f16_e32 v8, v44, v63
	v_fma_f16 v3, v43, v66, -v3
	v_fma_f16 v9, v44, v65, -v9
	v_sub_f16_e32 v0, v24, v0
	s_delay_alu instid0(VALU_DEP_4) | instskip(NEXT) | instid1(VALU_DEP_4)
	v_sub_f16_e32 v8, v7, v8
	v_sub_f16_e32 v3, v26, v3
	s_delay_alu instid0(VALU_DEP_4) | instskip(NEXT) | instid1(VALU_DEP_4)
	v_sub_f16_e32 v9, v1, v9
	v_fma_f16 v10, v24, 2.0, -v0
	s_delay_alu instid0(VALU_DEP_4) | instskip(NEXT) | instid1(VALU_DEP_4)
	v_fma_f16 v7, v7, 2.0, -v8
	v_fma_f16 v11, v26, 2.0, -v3
	s_delay_alu instid0(VALU_DEP_4) | instskip(SKIP_3) | instid1(VALU_DEP_4)
	v_fma_f16 v1, v1, 2.0, -v9
	v_add_f16_e32 v9, v0, v9
	v_sub_f16_e32 v8, v3, v8
	v_sub_f16_e32 v7, v10, v7
	;; [unrolled: 1-line block ×3, first 2 shown]
	s_delay_alu instid0(VALU_DEP_4) | instskip(NEXT) | instid1(VALU_DEP_4)
	v_fma_f16 v0, v0, 2.0, -v9
	v_fma_f16 v3, v3, 2.0, -v8
	s_delay_alu instid0(VALU_DEP_4) | instskip(NEXT) | instid1(VALU_DEP_4)
	v_fma_f16 v10, v10, 2.0, -v7
	v_fma_f16 v11, v11, 2.0, -v1
	v_pack_b32_f16 v1, v7, v1
	s_delay_alu instid0(VALU_DEP_4) | instskip(SKIP_1) | instid1(VALU_DEP_4)
	v_pack_b32_f16 v0, v0, v3
	v_pack_b32_f16 v3, v9, v8
	;; [unrolled: 1-line block ×3, first 2 shown]
	ds_store_b32 v72, v10 offset:1248
	ds_store_b32 v72, v0 offset:2600
	ds_store_b32 v72, v1 offset:3952
	ds_store_b32 v72, v3 offset:5304
.LBB0_9:
	s_wait_alu 0xfffe
	s_or_b32 exec_lo, exec_lo, s0
	global_wb scope:SCOPE_SE
	s_wait_dscnt 0x0
	s_barrier_signal -1
	s_barrier_wait -1
	global_inv scope:SCOPE_SE
	ds_load_2addr_b32 v[7:8], v72 offset1:52
	v_mad_co_u64_u32 v[21:22], null, s4, v115, 0
	v_add_nc_u32_e32 v3, 0x800, v72
	s_mov_b32 s8, 0x7ab2bedd
	s_mov_b32 s9, 0x3f483c97
	ds_load_2addr_b32 v[0:1], v3 offset0:112 offset1:164
	s_wait_dscnt 0x1
	v_lshrrev_b32_e32 v9, 16, v7
	v_mul_f16_e32 v10, v126, v7
	v_lshrrev_b32_e32 v17, 16, v8
	s_delay_alu instid0(VALU_DEP_3) | instskip(NEXT) | instid1(VALU_DEP_3)
	v_mul_f16_e32 v11, v126, v9
	v_fma_f16 v9, v119, v9, -v10
	s_delay_alu instid0(VALU_DEP_3)
	v_mul_f16_e32 v14, v124, v17
	s_wait_dscnt 0x0
	v_lshrrev_b32_e32 v13, 16, v1
	v_mul_f16_e32 v12, v125, v1
	v_fmac_f16_e32 v11, v119, v7
	v_cvt_f32_f16_e32 v7, v9
	v_fmac_f16_e32 v14, v118, v8
	v_mul_f16_e32 v18, v125, v13
	s_delay_alu instid0(VALU_DEP_4) | instskip(NEXT) | instid1(VALU_DEP_4)
	v_cvt_f32_f16_e32 v11, v11
	v_cvt_f64_f32_e32 v[9:10], v7
	v_fma_f16 v7, v122, v13, -v12
	s_delay_alu instid0(VALU_DEP_4) | instskip(SKIP_2) | instid1(VALU_DEP_4)
	v_fmac_f16_e32 v18, v122, v1
	v_cvt_f32_f16_e32 v15, v14
	v_cvt_f64_f32_e32 v[11:12], v11
	v_cvt_f32_f16_e32 v7, v7
	s_delay_alu instid0(VALU_DEP_4) | instskip(SKIP_2) | instid1(VALU_DEP_4)
	v_cvt_f32_f16_e32 v1, v18
	v_mul_f16_e32 v18, v124, v8
	v_cvt_f64_f32_e32 v[15:16], v15
	v_cvt_f64_f32_e32 v[13:14], v7
	s_delay_alu instid0(VALU_DEP_4) | instskip(NEXT) | instid1(VALU_DEP_4)
	v_cvt_f64_f32_e32 v[7:8], v1
	v_fma_f16 v1, v118, v17, -v18
	v_mad_co_u64_u32 v[17:18], null, s6, v57, 0
	s_delay_alu instid0(VALU_DEP_2) | instskip(NEXT) | instid1(VALU_DEP_1)
	v_cvt_f32_f16_e32 v1, v1
	v_cvt_f64_f32_e32 v[23:24], v1
	s_delay_alu instid0(VALU_DEP_3) | instskip(NEXT) | instid1(VALU_DEP_1)
	v_dual_mov_b32 v1, v18 :: v_dual_mov_b32 v18, v22
	v_mad_co_u64_u32 v[25:26], null, s7, v57, v[1:2]
	v_add_nc_u32_e32 v19, 0xa00, v72
	ds_load_2addr_b32 v[19:20], v19 offset0:88 offset1:140
	s_wait_alu 0xfffe
	v_mul_f64_e32 v[9:10], s[8:9], v[9:10]
	v_mul_f64_e32 v[11:12], s[8:9], v[11:12]
	;; [unrolled: 1-line block ×4, first 2 shown]
	s_wait_dscnt 0x0
	v_mad_co_u64_u32 v[26:27], null, s5, v115, v[18:19]
	v_mov_b32_e32 v18, v25
	v_lshrrev_b32_e32 v27, 16, v19
	v_mul_f64_e32 v[23:24], s[8:9], v[23:24]
	s_delay_alu instid0(VALU_DEP_3) | instskip(NEXT) | instid1(VALU_DEP_3)
	v_lshlrev_b64_e32 v[17:18], 2, v[17:18]
	v_mul_f16_e32 v28, v123, v27
	v_mov_b32_e32 v22, v26
	v_mul_f64_e32 v[25:26], s[8:9], v[7:8]
	s_delay_alu instid0(VALU_DEP_3) | instskip(NEXT) | instid1(VALU_DEP_3)
	v_fmac_f16_e32 v28, v117, v19
	v_lshlrev_b64_e32 v[21:22], 2, v[21:22]
	v_add_co_u32 v1, vcc_lo, s12, v17
	s_wait_alu 0xfffd
	v_add_co_ci_u32_e32 v7, vcc_lo, s13, v18, vcc_lo
	v_cvt_f32_f16_e32 v8, v28
	s_delay_alu instid0(VALU_DEP_3) | instskip(SKIP_1) | instid1(VALU_DEP_3)
	v_add_co_u32 v17, vcc_lo, v1, v21
	s_wait_alu 0xfffd
	v_add_co_ci_u32_e32 v18, vcc_lo, v7, v22, vcc_lo
	s_delay_alu instid0(VALU_DEP_3)
	v_cvt_f64_f32_e32 v[21:22], v8
	v_and_or_b32 v8, 0x1ff, v10, v9
	v_and_or_b32 v11, 0x1ff, v12, v11
	v_lshrrev_b32_e32 v9, 8, v10
	v_lshrrev_b32_e32 v29, 8, v12
	v_bfe_u32 v30, v12, 20, 11
	v_cmp_ne_u32_e32 vcc_lo, 0, v8
	v_and_or_b32 v13, 0x1ff, v14, v13
	v_bfe_u32 v28, v10, 20, 11
	v_bfe_u32 v33, v14, 20, 11
	v_sub_nc_u32_e32 v36, 0x3f1, v30
	s_wait_alu 0xfffd
	v_cndmask_b32_e64 v8, 0, 1, vcc_lo
	v_cmp_ne_u32_e32 vcc_lo, 0, v11
	v_add_nc_u32_e32 v30, 0xfffffc10, v30
	v_sub_nc_u32_e32 v31, 0x3f1, v28
	v_lshrrev_b32_e32 v32, 8, v14
	v_and_or_b32 v8, 0xffe, v9, v8
	s_wait_alu 0xfffd
	v_cndmask_b32_e64 v11, 0, 1, vcc_lo
	v_cmp_ne_u32_e32 vcc_lo, 0, v13
	v_med3_i32 v9, v31, 0, 13
	v_sub_nc_u32_e32 v38, 0x3f1, v33
	v_lshrrev_b32_e32 v12, 16, v12
	v_and_or_b32 v11, 0xffe, v29, v11
	s_wait_alu 0xfffd
	v_cndmask_b32_e64 v13, 0, 1, vcc_lo
	v_and_or_b32 v25, 0x1ff, v26, v25
	v_cmp_ne_u32_e32 vcc_lo, 0, v8
	v_med3_i32 v29, v36, 0, 13
	v_lshl_or_b32 v41, v30, 12, v11
	v_add_nc_u32_e32 v28, 0xfffffc10, v28
	v_or_b32_e32 v36, 0x1000, v8
	v_lshrrev_b32_e32 v31, 8, v26
	v_bfe_u32 v37, v26, 20, 11
	v_and_or_b32 v13, 0xffe, v32, v13
	v_lshl_or_b32 v39, v28, 12, v8
	s_wait_alu 0xfffd
	v_cndmask_b32_e64 v8, 0, 1, vcc_lo
	v_cmp_ne_u32_e32 vcc_lo, 0, v25
	v_sub_nc_u32_e32 v40, 0x3f1, v37
	v_add_nc_u32_e32 v37, 0xfffffc10, v37
	v_med3_i32 v32, v38, 0, 13
	v_or_b32_e32 v38, 0x1000, v11
	s_wait_alu 0xfffd
	v_cndmask_b32_e64 v25, 0, 1, vcc_lo
	v_cmp_ne_u32_e32 vcc_lo, 0, v11
	v_lshrrev_b32_e32 v42, v9, v36
	v_cmp_gt_i32_e64 s3, 1, v37
	v_lshrrev_b32_e32 v44, v29, v38
	v_and_or_b32 v25, 0xffe, v31, v25
	s_wait_alu 0xfffd
	v_cndmask_b32_e64 v11, 0, 1, vcc_lo
	v_med3_i32 v31, v40, 0, 13
	v_or_b32_e32 v40, 0x1000, v13
	v_lshlrev_b32_e32 v9, v9, v42
	v_cmp_ne_u32_e32 vcc_lo, 0, v25
	v_or_b32_e32 v45, 0x1000, v25
	v_lshl_or_b32 v46, v37, 12, v25
	v_lshrrev_b32_e32 v47, v32, v40
	v_lshl_or_b32 v11, v11, 9, 0x7c00
	s_wait_alu 0xfffd
	v_cndmask_b32_e64 v25, 0, 1, vcc_lo
	v_cmp_ne_u32_e32 vcc_lo, v9, v36
	v_lshrrev_b32_e32 v36, v31, v45
	v_lshlrev_b32_e32 v32, v32, v47
	v_lshl_or_b32 v8, v8, 9, 0x7c00
	v_lshl_or_b32 v25, v25, 9, 0x7c00
	v_lshlrev_b32_e32 v29, v29, v44
	s_wait_alu 0xfffd
	v_cndmask_b32_e64 v9, 0, 1, vcc_lo
	v_lshlrev_b32_e32 v31, v31, v36
	v_lshrrev_b32_e32 v10, 16, v10
	v_and_or_b32 v15, 0x1ff, v16, v15
	v_cmp_ne_u32_e32 vcc_lo, v29, v38
	v_or_b32_e32 v9, v42, v9
	v_lshrrev_b32_e32 v34, 8, v16
	v_bfe_u32 v35, v16, 20, 11
	v_mul_f16_e32 v19, v123, v19
	s_wait_alu 0xfffd
	v_cndmask_b32_e64 v29, 0, 1, vcc_lo
	v_cmp_ne_u32_e32 vcc_lo, v32, v40
	v_lshrrev_b32_e32 v14, 16, v14
	s_delay_alu instid0(VALU_DEP_3) | instskip(SKIP_3) | instid1(VALU_DEP_2)
	v_or_b32_e32 v29, v44, v29
	s_wait_alu 0xfffd
	v_cndmask_b32_e64 v32, 0, 1, vcc_lo
	v_cmp_gt_i32_e32 vcc_lo, 1, v30
	v_or_b32_e32 v32, v47, v32
	s_wait_alu 0xfffd
	v_cndmask_b32_e32 v29, v41, v29, vcc_lo
	v_cmp_gt_i32_e32 vcc_lo, 1, v28
	v_add_nc_u32_e32 v33, 0xfffffc10, v33
	s_delay_alu instid0(VALU_DEP_3)
	v_and_b32_e32 v38, 7, v29
	s_wait_alu 0xfffd
	v_cndmask_b32_e32 v9, v39, v9, vcc_lo
	v_cmp_ne_u32_e32 vcc_lo, v31, v45
	v_lshrrev_b32_e32 v29, 2, v29
	v_lshl_or_b32 v43, v33, 12, v13
	v_cmp_eq_u32_e64 s0, 3, v38
	v_and_b32_e32 v39, 7, v9
	s_wait_alu 0xfffd
	v_cndmask_b32_e64 v31, 0, 1, vcc_lo
	v_cmp_lt_i32_e32 vcc_lo, 5, v38
	v_lshrrev_b32_e32 v9, 2, v9
	v_cmp_lt_i32_e64 s1, 5, v39
	v_cmp_eq_u32_e64 s2, 3, v39
	s_or_b32 vcc_lo, s0, vcc_lo
	v_or_b32_e32 v31, v36, v31
	s_wait_alu 0xfffe
	v_add_co_ci_u32_e32 v29, vcc_lo, 0, v29, vcc_lo
	s_or_b32 vcc_lo, s2, s1
	v_cmp_eq_u32_e64 s0, 0x40f, v30
	s_wait_alu 0xfffe
	v_add_co_ci_u32_e32 v9, vcc_lo, 0, v9, vcc_lo
	v_cndmask_b32_e64 v31, v46, v31, s3
	v_cmp_gt_i32_e32 vcc_lo, 31, v30
	v_cmp_eq_u32_e64 s1, 0x40f, v28
	s_mul_u64 s[2:3], s[4:5], 0xa90
	s_wait_alu 0xfffd
	v_cndmask_b32_e32 v29, 0x7c00, v29, vcc_lo
	v_cmp_gt_i32_e32 vcc_lo, 31, v28
	v_and_b32_e32 v36, 7, v31
	s_delay_alu instid0(VALU_DEP_3) | instskip(SKIP_2) | instid1(VALU_DEP_3)
	v_cndmask_b32_e64 v11, v29, v11, s0
	s_wait_alu 0xfffd
	v_cndmask_b32_e32 v9, 0x7c00, v9, vcc_lo
	v_cmp_lt_i32_e32 vcc_lo, 5, v36
	v_cmp_eq_u32_e64 s0, 3, v36
	v_lshrrev_b32_e32 v29, 2, v31
	s_delay_alu instid0(VALU_DEP_4) | instskip(SKIP_1) | instid1(VALU_DEP_4)
	v_cndmask_b32_e64 v8, v9, v8, s1
	v_and_or_b32 v9, 0x8000, v12, v11
	s_or_b32 vcc_lo, s0, vcc_lo
	s_wait_alu 0xfffe
	v_add_co_ci_u32_e32 v11, vcc_lo, 0, v29, vcc_lo
	v_cmp_gt_i32_e32 vcc_lo, 1, v33
	v_and_or_b32 v8, 0x8000, v10, v8
	s_wait_alu 0xfffd
	v_dual_cndmask_b32 v12, v43, v32 :: v_dual_and_b32 v9, 0xffff, v9
	v_cmp_gt_i32_e32 vcc_lo, 31, v37
	s_delay_alu instid0(VALU_DEP_2)
	v_lshl_or_b32 v28, v8, 16, v9
	v_lshrrev_b32_e32 v9, 16, v26
	v_bfe_u32 v26, v24, 20, 11
	s_wait_alu 0xfffd
	v_cndmask_b32_e32 v10, 0x7c00, v11, vcc_lo
	v_cmp_ne_u32_e32 vcc_lo, 0, v15
	v_and_b32_e32 v15, 7, v12
	global_store_b32 v[17:18], v28, off
	s_wait_alu 0xfffd
	v_cndmask_b32_e64 v11, 0, 1, vcc_lo
	v_cmp_eq_u32_e32 vcc_lo, 0x40f, v37
	v_cmp_eq_u32_e64 s0, 3, v15
	s_wait_alu 0xfffd
	v_cndmask_b32_e32 v8, v10, v25, vcc_lo
	v_cmp_lt_i32_e32 vcc_lo, 5, v15
	v_and_or_b32 v25, 0xffe, v34, v11
	v_sub_nc_u32_e32 v10, 0x3f1, v35
	s_delay_alu instid0(VALU_DEP_4)
	v_and_or_b32 v15, 0x8000, v9, v8
	v_lshrrev_b32_e32 v8, 2, v12
	s_or_b32 vcc_lo, s0, vcc_lo
	v_or_b32_e32 v9, 0x1000, v25
	v_med3_i32 v10, v10, 0, 13
	v_and_b32_e32 v15, 0xffff, v15
	s_wait_alu 0xfffe
	v_add_co_ci_u32_e32 v8, vcc_lo, 0, v8, vcc_lo
	v_cmp_ne_u32_e32 vcc_lo, 0, v13
	v_and_or_b32 v13, 0x1ff, v24, v23
	v_lshrrev_b32_e32 v12, v10, v9
	s_wait_alu 0xfffd
	v_cndmask_b32_e64 v11, 0, 1, vcc_lo
	v_cmp_gt_i32_e32 vcc_lo, 31, v33
	s_delay_alu instid0(VALU_DEP_2)
	v_lshl_or_b32 v11, v11, 9, 0x7c00
	s_wait_alu 0xfffd
	v_cndmask_b32_e32 v23, 0x7c00, v8, vcc_lo
	v_cmp_ne_u32_e32 vcc_lo, 0, v13
	v_lshlrev_b32_e32 v8, v10, v12
	v_lshrrev_b32_e32 v13, 8, v24
	v_lshrrev_b32_e32 v24, 16, v24
	s_wait_alu 0xfffd
	v_cndmask_b32_e64 v10, 0, 1, vcc_lo
	v_cmp_ne_u32_e32 vcc_lo, v8, v9
	v_mul_f64_e32 v[8:9], s[8:9], v[21:22]
	s_delay_alu instid0(VALU_DEP_3)
	v_and_or_b32 v30, 0xffe, v13, v10
	v_sub_nc_u32_e32 v10, 0x3f1, v26
	v_fma_f16 v13, v117, v27, -v19
	s_wait_alu 0xfffd
	v_cndmask_b32_e64 v29, 0, 1, vcc_lo
	v_cmp_eq_u32_e32 vcc_lo, 0x40f, v33
	v_add_nc_u32_e32 v19, 0xfffffc10, v35
	v_med3_i32 v22, v10, 0, 13
	v_cvt_f32_f16_e32 v10, v13
	v_or_b32_e32 v21, 0x1000, v30
	s_wait_alu 0xfffd
	v_cndmask_b32_e32 v23, v23, v11, vcc_lo
	v_or_b32_e32 v12, v12, v29
	v_lshl_or_b32 v13, v19, 12, v25
	v_cvt_f64_f32_e32 v[10:11], v10
	v_lshrrev_b32_e32 v27, v22, v21
	v_cmp_gt_i32_e32 vcc_lo, 1, v19
	v_and_or_b32 v14, 0x8000, v14, v23
	s_wait_alu 0xfffd
	s_delay_alu instid0(VALU_DEP_3)
	v_dual_cndmask_b32 v29, v13, v12 :: v_dual_lshlrev_b32 v22, v22, v27
	ds_load_2addr_b32 v[12:13], v72 offset0:104 offset1:156
	v_cmp_ne_u32_e32 vcc_lo, v22, v21
	v_and_b32_e32 v23, 7, v29
	v_add_nc_u32_e32 v22, 0xfffffc10, v26
	v_lshl_or_b32 v26, v14, 16, v15
	s_wait_alu 0xfffd
	v_cndmask_b32_e64 v21, 0, 1, vcc_lo
	v_cmp_lt_i32_e32 vcc_lo, 5, v23
	v_cmp_eq_u32_e64 s0, 3, v23
	v_lshl_or_b32 v15, v22, 12, v30
	v_cmp_gt_i32_e64 s1, 1, v22
	v_or_b32_e32 v14, v27, v21
	v_lshrrev_b32_e32 v21, 2, v29
	s_or_b32 vcc_lo, s0, vcc_lo
	v_and_or_b32 v8, 0x1ff, v9, v8
	v_bfe_u32 v29, v9, 20, 11
	v_cndmask_b32_e64 v14, v15, v14, s1
	s_wait_alu 0xfffe
	v_add_co_ci_u32_e32 v15, vcc_lo, 0, v21, vcc_lo
	s_wait_dscnt 0x0
	v_lshrrev_b32_e32 v21, 16, v12
	v_cmp_ne_u32_e32 vcc_lo, 0, v25
	v_and_b32_e32 v25, 7, v14
	v_cmp_ne_u32_e64 s0, 0, v8
	v_sub_nc_u32_e32 v31, 0x3f1, v29
	v_mul_f16_e32 v27, v121, v21
	s_wait_alu 0xfffd
	v_cndmask_b32_e64 v23, 0, 1, vcc_lo
	v_cmp_gt_i32_e32 vcc_lo, 31, v19
	s_wait_alu 0xf1ff
	v_cndmask_b32_e64 v8, 0, 1, s0
	v_mul_f64_e32 v[10:11], s[8:9], v[10:11]
	v_fmac_f16_e32 v27, v112, v12
	v_cmp_eq_u32_e64 s0, 3, v25
	s_wait_alu 0xfffd
	v_cndmask_b32_e32 v28, 0x7c00, v15, vcc_lo
	v_cmp_lt_i32_e32 vcc_lo, 5, v25
	v_lshrrev_b32_e32 v15, 8, v9
	v_cvt_f32_f16_e32 v27, v27
	v_lshrrev_b32_e32 v25, 2, v14
	v_lshl_or_b32 v23, v23, 9, 0x7c00
	s_or_b32 vcc_lo, s0, vcc_lo
	v_and_or_b32 v8, 0xffe, v15, v8
	v_cvt_f64_f32_e32 v[14:15], v27
	s_wait_alu 0xfffe
	v_add_co_ci_u32_e32 v25, vcc_lo, 0, v25, vcc_lo
	v_cmp_ne_u32_e32 vcc_lo, 0, v30
	v_or_b32_e32 v30, 0x1000, v8
	v_med3_i32 v31, v31, 0, 13
	v_mul_f16_e32 v12, v121, v12
	s_movk_i32 s0, 0xf640
	s_wait_alu 0xfffd
	v_cndmask_b32_e64 v27, 0, 1, vcc_lo
	v_cmp_gt_i32_e32 vcc_lo, 31, v22
	s_mov_b32 s1, -1
	v_fma_f16 v12, v112, v21, -v12
	s_wait_alu 0xfffe
	s_mul_u64 s[6:7], s[4:5], s[0:1]
	v_lshl_or_b32 v27, v27, 9, 0x7c00
	s_wait_alu 0xfffd
	v_cndmask_b32_e32 v25, 0x7c00, v25, vcc_lo
	v_cmp_eq_u32_e32 vcc_lo, 0x40f, v19
	v_cvt_f32_f16_e32 v12, v12
	s_wait_alu 0xfffd
	v_cndmask_b32_e32 v19, v28, v23, vcc_lo
	v_lshrrev_b32_e32 v23, v31, v30
	v_cmp_eq_u32_e32 vcc_lo, 0x40f, v22
	v_lshrrev_b32_e32 v28, 16, v16
	s_wait_alu 0xfffd
	v_cndmask_b32_e32 v22, v25, v27, vcc_lo
	v_lshlrev_b32_e32 v25, v31, v23
	v_add_co_u32 v16, vcc_lo, v17, s2
	s_wait_alu 0xfffd
	v_add_co_ci_u32_e32 v17, vcc_lo, s3, v18, vcc_lo
	s_delay_alu instid0(VALU_DEP_3)
	v_cmp_ne_u32_e32 vcc_lo, v25, v30
	v_and_or_b32 v10, 0x1ff, v11, v10
	v_and_or_b32 v18, 0x8000, v28, v19
	;; [unrolled: 1-line block ×3, first 2 shown]
	v_add_nc_u32_e32 v24, 0xfffffc10, v29
	s_wait_alu 0xfffd
	v_cndmask_b32_e64 v19, 0, 1, vcc_lo
	v_cmp_ne_u32_e32 vcc_lo, 0, v10
	v_mul_f64_e32 v[14:15], s[8:9], v[14:15]
	v_and_b32_e32 v21, 0xffff, v18
	v_lshl_or_b32 v25, v24, 12, v8
	v_or_b32_e32 v23, v23, v19
	s_wait_alu 0xfffd
	v_cndmask_b32_e64 v10, 0, 1, vcc_lo
	v_cmp_gt_i32_e32 vcc_lo, 1, v24
	v_cvt_f64_f32_e32 v[18:19], v12
	v_lshrrev_b32_e32 v27, 8, v11
	v_bfe_u32 v28, v11, 20, 11
	v_lshl_or_b32 v21, v22, 16, v21
	s_wait_alu 0xfffd
	v_cndmask_b32_e32 v12, v25, v23, vcc_lo
	global_store_b32 v[16:17], v26, off
	v_and_or_b32 v10, 0xffe, v27, v10
	v_sub_nc_u32_e32 v22, 0x3f1, v28
	s_wait_alu 0xfffe
	v_add_co_u32 v16, s1, v16, s6
	v_and_b32_e32 v23, 7, v12
	v_or_b32_e32 v25, 0x1000, v10
	v_med3_i32 v22, v22, 0, 13
	v_lshrrev_b32_e32 v12, 2, v12
	s_wait_alu 0xf1ff
	v_add_co_ci_u32_e64 v17, s1, s7, v17, s1
	v_cmp_lt_i32_e32 vcc_lo, 5, v23
	v_cmp_eq_u32_e64 s0, 3, v23
	v_lshrrev_b32_e32 v23, v22, v25
	global_store_b32 v[16:17], v21, off
	v_lshrrev_b32_e32 v26, 16, v20
	v_lshrrev_b32_e32 v30, 16, v111
	s_or_b32 vcc_lo, s0, vcc_lo
	v_lshlrev_b32_e32 v22, v22, v23
	s_wait_alu 0xfffe
	v_add_co_ci_u32_e32 v12, vcc_lo, 0, v12, vcc_lo
	v_cmp_gt_i32_e32 vcc_lo, 31, v24
	v_lshrrev_b32_e32 v11, 16, v11
	v_lshrrev_b32_e32 v31, 16, v109
	s_wait_alu 0xfffd
	v_cndmask_b32_e32 v12, 0x7c00, v12, vcc_lo
	v_cmp_ne_u32_e32 vcc_lo, v22, v25
	v_add_nc_u32_e32 v25, 0xfffffc10, v28
	v_mul_f16_e32 v22, v30, v26
	v_and_or_b32 v14, 0x1ff, v15, v14
	v_lshrrev_b32_e32 v27, 8, v15
	s_wait_alu 0xfffd
	v_cndmask_b32_e64 v21, 0, 1, vcc_lo
	v_cmp_ne_u32_e32 vcc_lo, 0, v8
	v_mul_f64_e32 v[18:19], s[8:9], v[18:19]
	v_fmac_f16_e32 v22, v111, v20
	v_bfe_u32 v28, v15, 20, 11
	v_or_b32_e32 v21, v23, v21
	s_wait_alu 0xfffd
	v_cndmask_b32_e64 v8, 0, 1, vcc_lo
	v_lshl_or_b32 v23, v25, 12, v10
	v_cmp_gt_i32_e32 vcc_lo, 1, v25
	v_mul_f16_e32 v20, v30, v20
	s_delay_alu instid0(VALU_DEP_4)
	v_lshl_or_b32 v8, v8, 9, 0x7c00
	s_wait_alu 0xfffd
	v_cndmask_b32_e32 v23, v23, v21, vcc_lo
	v_cmp_ne_u32_e32 vcc_lo, 0, v14
	v_cvt_f32_f16_e32 v21, v22
	v_fma_f16 v20, v111, v26, -v20
	v_lshrrev_b32_e32 v26, 16, v9
	v_and_b32_e32 v29, 7, v23
	s_wait_alu 0xfffd
	v_cndmask_b32_e64 v14, 0, 1, vcc_lo
	v_cmp_eq_u32_e32 vcc_lo, 0x40f, v24
	v_cvt_f64_f32_e32 v[21:22], v21
	v_lshrrev_b32_e32 v9, 2, v23
	v_cmp_eq_u32_e64 s0, 3, v29
	v_and_or_b32 v14, 0xffe, v27, v14
	v_sub_nc_u32_e32 v27, 0x3f1, v28
	s_wait_alu 0xfffd
	v_cndmask_b32_e32 v12, v12, v8, vcc_lo
	v_cmp_lt_i32_e32 vcc_lo, 5, v29
	v_cvt_f32_f16_e32 v20, v20
	v_or_b32_e32 v24, 0x1000, v14
	v_med3_i32 v8, v27, 0, 13
	v_and_or_b32 v12, 0x8000, v26, v12
	s_or_b32 vcc_lo, s0, vcc_lo
	s_wait_alu 0xfffe
	v_add_co_ci_u32_e32 v27, vcc_lo, 0, v9, vcc_lo
	v_lshrrev_b32_e32 v23, v8, v24
	v_cmp_ne_u32_e32 vcc_lo, 0, v10
	v_and_or_b32 v18, 0x1ff, v19, v18
	s_delay_alu instid0(VALU_DEP_3) | instskip(SKIP_4) | instid1(VALU_DEP_3)
	v_lshlrev_b32_e32 v29, v8, v23
	s_wait_alu 0xfffd
	v_cndmask_b32_e64 v10, 0, 1, vcc_lo
	v_cmp_gt_i32_e32 vcc_lo, 31, v25
	v_cvt_f64_f32_e32 v[8:9], v20
	v_lshl_or_b32 v10, v10, 9, 0x7c00
	s_wait_alu 0xfffd
	v_cndmask_b32_e32 v20, 0x7c00, v27, vcc_lo
	v_cmp_ne_u32_e32 vcc_lo, v29, v24
	v_add_nc_u32_e32 v27, 0xfffffc10, v28
	v_bfe_u32 v28, v19, 20, 11
	s_wait_alu 0xfffd
	v_cndmask_b32_e64 v24, 0, 1, vcc_lo
	v_cmp_eq_u32_e32 vcc_lo, 0x40f, v25
	v_lshrrev_b32_e32 v25, 8, v19
	v_lshrrev_b32_e32 v19, 16, v19
	s_delay_alu instid0(VALU_DEP_4)
	v_or_b32_e32 v23, v23, v24
	s_wait_alu 0xfffd
	v_cndmask_b32_e32 v10, v20, v10, vcc_lo
	v_cmp_ne_u32_e32 vcc_lo, 0, v18
	v_lshl_or_b32 v24, v27, 12, v14
	v_mul_f64_e32 v[20:21], s[8:9], v[21:22]
	s_delay_alu instid0(VALU_DEP_4) | instskip(SKIP_4) | instid1(VALU_DEP_3)
	v_and_or_b32 v10, 0x8000, v11, v10
	s_wait_alu 0xfffd
	v_cndmask_b32_e64 v18, 0, 1, vcc_lo
	v_cmp_gt_i32_e32 vcc_lo, 1, v27
	v_and_b32_e32 v11, 0xffff, v12
	v_and_or_b32 v18, 0xffe, v25, v18
	s_wait_alu 0xfffd
	v_cndmask_b32_e32 v22, v24, v23, vcc_lo
	v_sub_nc_u32_e32 v23, 0x3f1, v28
	v_lshrrev_b32_e32 v25, 16, v13
	v_or_b32_e32 v12, 0x1000, v18
	s_delay_alu instid0(VALU_DEP_4) | instskip(NEXT) | instid1(VALU_DEP_4)
	v_and_b32_e32 v24, 7, v22
	v_med3_i32 v23, v23, 0, 13
	s_delay_alu instid0(VALU_DEP_4) | instskip(NEXT) | instid1(VALU_DEP_3)
	v_mul_f16_e32 v29, v31, v25
	v_cmp_lt_i32_e32 vcc_lo, 5, v24
	v_cmp_eq_u32_e64 s0, 3, v24
	v_lshl_or_b32 v24, v10, 16, v11
	v_lshrrev_b32_e32 v10, 2, v22
	v_lshrrev_b32_e32 v22, v23, v12
	v_mul_f64_e32 v[8:9], s[8:9], v[8:9]
	s_or_b32 vcc_lo, s0, vcc_lo
	v_fmac_f16_e32 v29, v109, v13
	s_wait_alu 0xfffe
	v_add_co_ci_u32_e32 v26, vcc_lo, 0, v10, vcc_lo
	v_add_co_u32 v10, vcc_lo, v16, s2
	s_wait_alu 0xfffd
	v_add_co_ci_u32_e32 v11, vcc_lo, s3, v17, vcc_lo
	v_lshlrev_b32_e32 v23, v23, v22
	v_cmp_gt_i32_e32 vcc_lo, 31, v27
	v_cvt_f32_f16_e32 v16, v29
	global_store_b32 v[10:11], v24, off
	v_and_or_b32 v20, 0x1ff, v21, v20
	s_wait_alu 0xfffd
	v_cndmask_b32_e32 v26, 0x7c00, v26, vcc_lo
	v_cmp_ne_u32_e32 vcc_lo, v23, v12
	v_add_nc_u32_e32 v23, 0xfffffc10, v28
	v_cvt_f64_f32_e32 v[16:17], v16
	v_bfe_u32 v28, v21, 20, 11
	s_wait_alu 0xfffd
	v_cndmask_b32_e64 v12, 0, 1, vcc_lo
	v_cmp_ne_u32_e32 vcc_lo, 0, v14
	s_delay_alu instid0(VALU_DEP_2) | instskip(SKIP_4) | instid1(VALU_DEP_3)
	v_or_b32_e32 v12, v22, v12
	s_wait_alu 0xfffd
	v_cndmask_b32_e64 v14, 0, 1, vcc_lo
	v_lshl_or_b32 v22, v23, 12, v18
	v_cmp_gt_i32_e32 vcc_lo, 1, v23
	v_lshl_or_b32 v14, v14, 9, 0x7c00
	s_wait_alu 0xfffd
	s_delay_alu instid0(VALU_DEP_3)
	v_cndmask_b32_e32 v12, v22, v12, vcc_lo
	v_cmp_ne_u32_e32 vcc_lo, 0, v20
	v_lshrrev_b32_e32 v22, 8, v21
	v_lshrrev_b32_e32 v21, 16, v21
	v_and_or_b32 v8, 0x1ff, v9, v8
	v_and_b32_e32 v29, 7, v12
	s_wait_alu 0xfffd
	v_cndmask_b32_e64 v20, 0, 1, vcc_lo
	v_cmp_eq_u32_e32 vcc_lo, 0x40f, v27
	v_lshrrev_b32_e32 v12, 2, v12
	v_lshrrev_b32_e32 v27, 16, v15
	v_cmp_eq_u32_e64 s0, 3, v29
	v_and_or_b32 v20, 0xffe, v22, v20
	s_wait_alu 0xfffd
	v_cndmask_b32_e32 v26, v26, v14, vcc_lo
	v_sub_nc_u32_e32 v14, 0x3f1, v28
	v_cmp_lt_i32_e32 vcc_lo, 5, v29
	v_add_nc_u32_e32 v28, 0xfffffc10, v28
	v_or_b32_e32 v22, 0x1000, v20
	v_and_or_b32 v24, 0x8000, v27, v26
	v_med3_i32 v14, v14, 0, 13
	s_or_b32 vcc_lo, s0, vcc_lo
	s_wait_alu 0xfffe
	v_add_co_ci_u32_e32 v29, vcc_lo, 0, v12, vcc_lo
	s_delay_alu instid0(VALU_DEP_2) | instskip(SKIP_2) | instid1(VALU_DEP_3)
	v_lshrrev_b32_e32 v30, v14, v22
	v_cmp_ne_u32_e32 vcc_lo, 0, v18
	v_mul_f16_e32 v12, v31, v13
	v_lshlrev_b32_e32 v13, v14, v30
	s_wait_alu 0xfffd
	v_cndmask_b32_e64 v18, 0, 1, vcc_lo
	v_cmp_ne_u32_e32 vcc_lo, 0, v8
	v_fma_f16 v12, v109, v25, -v12
	v_lshrrev_b32_e32 v14, 8, v9
	v_bfe_u32 v25, v9, 20, 11
	v_lshl_or_b32 v18, v18, 9, 0x7c00
	s_wait_alu 0xfffd
	v_cndmask_b32_e64 v8, 0, 1, vcc_lo
	v_cmp_ne_u32_e32 vcc_lo, v13, v22
	v_cvt_f32_f16_e32 v12, v12
	v_sub_nc_u32_e32 v31, 0x3f1, v25
	s_delay_alu instid0(VALU_DEP_4)
	v_and_or_b32 v8, 0xffe, v14, v8
	s_wait_alu 0xfffd
	v_cndmask_b32_e64 v22, 0, 1, vcc_lo
	v_cmp_gt_i32_e32 vcc_lo, 31, v23
	v_cvt_f64_f32_e32 v[12:13], v12
	v_mul_f64_e32 v[14:15], s[8:9], v[16:17]
	v_lshl_or_b32 v17, v28, 12, v20
	v_or_b32_e32 v16, v30, v22
	v_or_b32_e32 v22, 0x1000, v8
	v_med3_i32 v30, v31, 0, 13
	s_wait_alu 0xfffd
	v_cndmask_b32_e32 v29, 0x7c00, v29, vcc_lo
	v_cmp_gt_i32_e32 vcc_lo, 1, v28
	s_delay_alu instid0(VALU_DEP_3)
	v_lshrrev_b32_e32 v32, v30, v22
	s_wait_alu 0xfffd
	v_cndmask_b32_e32 v31, v17, v16, vcc_lo
	v_cmp_eq_u32_e32 vcc_lo, 0x40f, v23
	ds_load_2addr_b32 v[16:17], v5 offset0:64 offset1:116
	s_wait_alu 0xfffd
	v_dual_cndmask_b32 v18, v29, v18 :: v_dual_and_b32 v23, 7, v31
	v_lshlrev_b32_e32 v29, v30, v32
	s_delay_alu instid0(VALU_DEP_2) | instskip(NEXT) | instid1(VALU_DEP_3)
	v_cmp_lt_i32_e32 vcc_lo, 5, v23
	v_and_or_b32 v26, 0x8000, v19, v18
	s_delay_alu instid0(VALU_DEP_3) | instskip(SKIP_3) | instid1(VALU_DEP_3)
	v_cmp_ne_u32_e64 s0, v29, v22
	v_lshrrev_b32_e32 v19, 2, v31
	v_add_nc_u32_e32 v22, 0xfffffc10, v25
	s_wait_alu 0xf1ff
	v_cndmask_b32_e64 v18, 0, 1, s0
	v_cmp_eq_u32_e64 s0, 3, v23
	v_and_b32_e32 v23, 0xffff, v24
	v_lshl_or_b32 v24, v22, 12, v8
	s_delay_alu instid0(VALU_DEP_4) | instskip(NEXT) | instid1(VALU_DEP_4)
	v_or_b32_e32 v18, v32, v18
	s_or_b32 vcc_lo, s0, vcc_lo
	s_wait_dscnt 0x0
	v_lshrrev_b32_e32 v25, 16, v16
	s_wait_alu 0xfffe
	v_add_co_ci_u32_e32 v19, vcc_lo, 0, v19, vcc_lo
	v_cmp_ne_u32_e32 vcc_lo, 0, v20
	v_mul_f64_e32 v[12:13], s[8:9], v[12:13]
	v_and_or_b32 v14, 0x1ff, v15, v14
	v_lshrrev_b32_e32 v32, 16, v107
	v_lshrrev_b32_e32 v29, 8, v15
	s_wait_alu 0xfffd
	v_cndmask_b32_e64 v20, 0, 1, vcc_lo
	v_cmp_gt_i32_e32 vcc_lo, 1, v22
	v_bfe_u32 v30, v15, 20, 11
	v_lshl_or_b32 v26, v26, 16, v23
	s_delay_alu instid0(VALU_DEP_4) | instskip(SKIP_4) | instid1(VALU_DEP_2)
	v_lshl_or_b32 v20, v20, 9, 0x7c00
	s_wait_alu 0xfffd
	v_cndmask_b32_e32 v24, v24, v18, vcc_lo
	v_cmp_gt_i32_e32 vcc_lo, 31, v28
	s_wait_alu 0xfffd
	v_dual_cndmask_b32 v18, 0x7c00, v19 :: v_dual_and_b32 v27, 7, v24
	v_mul_f16_e32 v19, v32, v25
	v_cmp_ne_u32_e32 vcc_lo, 0, v14
	v_lshrrev_b32_e32 v24, 2, v24
	s_delay_alu instid0(VALU_DEP_4) | instskip(NEXT) | instid1(VALU_DEP_4)
	v_cmp_eq_u32_e64 s0, 3, v27
	v_fmac_f16_e32 v19, v107, v16
	s_wait_alu 0xfffd
	v_cndmask_b32_e64 v14, 0, 1, vcc_lo
	v_cmp_eq_u32_e32 vcc_lo, 0x40f, v28
	v_sub_nc_u32_e32 v28, 0x3f1, v30
	v_mul_f16_e32 v16, v32, v16
	s_delay_alu instid0(VALU_DEP_4)
	v_and_or_b32 v14, 0xffe, v29, v14
	s_wait_alu 0xfffd
	v_cndmask_b32_e32 v20, v18, v20, vcc_lo
	v_cvt_f32_f16_e32 v18, v19
	v_cmp_lt_i32_e32 vcc_lo, 5, v27
	v_med3_i32 v28, v28, 0, 13
	v_or_b32_e32 v27, 0x1000, v14
	v_and_or_b32 v31, 0x8000, v21, v20
	v_cvt_f64_f32_e32 v[18:19], v18
	s_or_b32 vcc_lo, s0, vcc_lo
	v_fma_f16 v16, v107, v25, -v16
	s_wait_alu 0xfffe
	v_add_co_ci_u32_e32 v24, vcc_lo, 0, v24, vcc_lo
	v_cmp_ne_u32_e32 vcc_lo, 0, v8
	v_lshrrev_b32_e32 v29, v28, v27
	v_cvt_f32_f16_e32 v16, v16
	v_bfe_u32 v25, v13, 20, 11
	s_wait_alu 0xfffd
	v_cndmask_b32_e64 v8, 0, 1, vcc_lo
	v_cmp_gt_i32_e32 vcc_lo, 31, v22
	v_lshlrev_b32_e32 v20, v28, v29
	s_delay_alu instid0(VALU_DEP_3) | instskip(SKIP_4) | instid1(VALU_DEP_2)
	v_lshl_or_b32 v8, v8, 9, 0x7c00
	s_wait_alu 0xfffd
	v_cndmask_b32_e32 v24, 0x7c00, v24, vcc_lo
	v_cmp_eq_u32_e32 vcc_lo, 0x40f, v22
	s_wait_alu 0xfffd
	v_cndmask_b32_e32 v22, v24, v8, vcc_lo
	v_and_or_b32 v8, 0x1ff, v13, v12
	v_cmp_ne_u32_e32 vcc_lo, v20, v27
	v_add_nc_u32_e32 v24, 0xfffffc10, v30
	v_lshrrev_b32_e32 v20, 8, v13
	s_wait_alu 0xfffd
	v_cndmask_b32_e64 v12, 0, 1, vcc_lo
	v_cmp_ne_u32_e32 vcc_lo, 0, v8
	v_lshl_or_b32 v27, v24, 12, v14
	s_delay_alu instid0(VALU_DEP_3)
	v_or_b32_e32 v12, v29, v12
	s_wait_alu 0xfffd
	v_cndmask_b32_e64 v8, 0, 1, vcc_lo
	v_cmp_gt_i32_e32 vcc_lo, 1, v24
	v_sub_nc_u32_e32 v29, 0x3f1, v25
	v_add_nc_u32_e32 v25, 0xfffffc10, v25
	s_delay_alu instid0(VALU_DEP_4)
	v_and_or_b32 v28, 0xffe, v20, v8
	v_cvt_f64_f32_e32 v[20:21], v16
	v_lshrrev_b32_e32 v16, 16, v9
	s_wait_alu 0xfffd
	v_cndmask_b32_e32 v12, v27, v12, vcc_lo
	v_mul_f64_e32 v[8:9], s[8:9], v[18:19]
	v_or_b32_e32 v27, 0x1000, v28
	v_med3_i32 v18, v29, 0, 13
	v_and_or_b32 v16, 0x8000, v16, v22
	v_and_b32_e32 v22, 7, v12
	v_add_co_u32 v10, vcc_lo, v10, s6
	s_wait_alu 0xfffd
	v_add_co_ci_u32_e32 v11, vcc_lo, s7, v11, vcc_lo
	v_lshrrev_b32_e32 v23, v18, v27
	v_cmp_lt_i32_e32 vcc_lo, 5, v22
	v_cmp_eq_u32_e64 s0, 3, v22
	v_lshl_or_b32 v22, v25, 12, v28
	v_and_b32_e32 v19, 0xffff, v31
	v_lshlrev_b32_e32 v29, v18, v23
	v_lshrrev_b32_e32 v31, 16, v105
	s_or_b32 vcc_lo, s0, vcc_lo
	s_delay_alu instid0(VALU_DEP_3) | instskip(SKIP_4) | instid1(VALU_DEP_2)
	v_lshl_or_b32 v16, v16, 16, v19
	ds_load_2addr_b32 v[18:19], v6 offset0:80 offset1:132
	v_lshrrev_b32_e32 v6, 2, v12
	v_cmp_ne_u32_e64 s1, v29, v27
	s_wait_alu 0xfffe
	v_add_co_ci_u32_e32 v6, vcc_lo, 0, v6, vcc_lo
	v_cmp_ne_u32_e32 vcc_lo, 0, v14
	s_wait_alu 0xf1ff
	v_cndmask_b32_e64 v12, 0, 1, s1
	s_wait_alu 0xfffd
	v_cndmask_b32_e64 v14, 0, 1, vcc_lo
	v_cmp_gt_i32_e32 vcc_lo, 31, v24
	s_delay_alu instid0(VALU_DEP_3) | instskip(SKIP_1) | instid1(VALU_DEP_4)
	v_or_b32_e32 v12, v23, v12
	v_mul_f64_e32 v[20:21], s[8:9], v[20:21]
	v_lshl_or_b32 v14, v14, 9, 0x7c00
	s_wait_alu 0xfffd
	v_cndmask_b32_e32 v6, 0x7c00, v6, vcc_lo
	v_cmp_gt_i32_e32 vcc_lo, 1, v25
	s_wait_dscnt 0x0
	v_lshrrev_b32_e32 v27, 16, v18
	v_and_or_b32 v8, 0x1ff, v9, v8
	v_bfe_u32 v29, v9, 20, 11
	s_wait_alu 0xfffd
	v_cndmask_b32_e32 v12, v22, v12, vcc_lo
	v_cmp_eq_u32_e32 vcc_lo, 0x40f, v24
	v_lshrrev_b32_e32 v22, 16, v15
	v_mul_f16_e32 v24, v31, v27
	v_cmp_ne_u32_e64 s0, 0, v8
	s_wait_alu 0xfffd
	v_dual_cndmask_b32 v6, v6, v14 :: v_dual_and_b32 v23, 7, v12
	v_add_co_u32 v14, vcc_lo, v10, s2
	s_wait_alu 0xfffd
	v_add_co_ci_u32_e32 v15, vcc_lo, s3, v11, vcc_lo
	global_store_b32 v[10:11], v26, off
	global_store_b32 v[14:15], v16, off
	scratch_load_b32 v33, off, off th:TH_LOAD_LU ; 4-byte Folded Reload
	v_fmac_f16_e32 v24, v105, v18
	v_cmp_lt_i32_e32 vcc_lo, 5, v23
	s_wait_alu 0xf1ff
	v_cndmask_b32_e64 v8, 0, 1, s0
	v_cmp_eq_u32_e64 s0, 3, v23
	v_lshrrev_b32_e32 v12, 2, v12
	v_and_or_b32 v6, 0x8000, v22, v6
	v_cvt_f32_f16_e32 v22, v24
	v_lshrrev_b32_e32 v24, 8, v9
	s_or_b32 vcc_lo, s0, vcc_lo
	v_mul_f16_e32 v18, v31, v18
	s_wait_alu 0xfffe
	v_add_co_ci_u32_e32 v12, vcc_lo, 0, v12, vcc_lo
	v_and_or_b32 v8, 0xffe, v24, v8
	v_sub_nc_u32_e32 v24, 0x3f1, v29
	v_cmp_ne_u32_e32 vcc_lo, 0, v28
	v_cvt_f64_f32_e32 v[22:23], v22
	v_fma_f16 v18, v105, v27, -v18
	v_or_b32_e32 v30, 0x1000, v8
	v_med3_i32 v24, v24, 0, 13
	s_wait_alu 0xfffd
	v_cndmask_b32_e64 v28, 0, 1, vcc_lo
	v_cmp_gt_i32_e32 vcc_lo, 31, v25
	v_and_or_b32 v20, 0x1ff, v21, v20
	v_bfe_u32 v31, v21, 20, 11
	v_lshrrev_b32_e32 v27, v24, v30
	v_lshl_or_b32 v28, v28, 9, 0x7c00
	s_wait_alu 0xfffd
	v_cndmask_b32_e32 v12, 0x7c00, v12, vcc_lo
	v_cmp_eq_u32_e32 vcc_lo, 0x40f, v25
	v_and_b32_e32 v6, 0xffff, v6
	v_lshlrev_b32_e32 v24, v24, v27
	s_wait_alu 0xfffd
	v_cndmask_b32_e32 v25, v12, v28, vcc_lo
	v_cmp_ne_u32_e32 vcc_lo, 0, v20
	v_cvt_f32_f16_e32 v12, v18
	v_lshrrev_b32_e32 v28, 8, v21
	v_lshrrev_b32_e32 v18, 16, v13
	s_wait_alu 0xfffd
	v_cndmask_b32_e64 v20, 0, 1, vcc_lo
	v_cmp_ne_u32_e32 vcc_lo, v24, v30
	v_cvt_f64_f32_e32 v[12:13], v12
	v_and_or_b32 v18, 0x8000, v18, v25
	v_lshrrev_b32_e32 v30, 16, v103
	v_and_or_b32 v20, 0xffe, v28, v20
	s_wait_alu 0xfffd
	v_cndmask_b32_e64 v24, 0, 1, vcc_lo
	v_sub_nc_u32_e32 v28, 0x3f1, v31
	v_lshl_or_b32 v6, v18, 16, v6
	s_delay_alu instid0(VALU_DEP_3) | instskip(SKIP_4) | instid1(VALU_DEP_4)
	v_or_b32_e32 v24, v27, v24
	v_add_nc_u32_e32 v29, 0xfffffc10, v29
	v_or_b32_e32 v27, 0x1000, v20
	v_med3_i32 v28, v28, 0, 13
	v_mul_f64_e32 v[22:23], s[8:9], v[22:23]
	v_lshl_or_b32 v25, v29, 12, v8
	v_cmp_gt_i32_e32 vcc_lo, 1, v29
	s_wait_alu 0xfffd
	s_delay_alu instid0(VALU_DEP_2)
	v_cndmask_b32_e32 v24, v25, v24, vcc_lo
	v_lshrrev_b32_e32 v25, v28, v27
	v_add_co_u32 v10, vcc_lo, v14, s6
	s_wait_alu 0xfffd
	v_add_co_ci_u32_e32 v11, vcc_lo, s7, v15, vcc_lo
	v_and_b32_e32 v16, 7, v24
	v_lshlrev_b32_e32 v18, v28, v25
	v_lshrrev_b32_e32 v14, 2, v24
	global_store_b32 v[10:11], v6, off
	v_cmp_lt_i32_e32 vcc_lo, 5, v16
	v_cmp_eq_u32_e64 s0, 3, v16
	v_cmp_ne_u32_e64 s1, v18, v27
	v_add_nc_u32_e32 v16, 0xfffffc10, v31
	v_lshrrev_b32_e32 v27, 16, v9
	s_delay_alu instid0(VALU_DEP_4) | instskip(NEXT) | instid1(VALU_DEP_3)
	s_or_b32 vcc_lo, s0, vcc_lo
	v_cndmask_b32_e64 v15, 0, 1, s1
	s_wait_alu 0xfffe
	v_add_co_ci_u32_e32 v14, vcc_lo, 0, v14, vcc_lo
	v_cmp_ne_u32_e32 vcc_lo, 0, v8
	v_lshl_or_b32 v18, v16, 12, v20
	v_or_b32_e32 v15, v25, v15
	v_mul_f64_e32 v[12:13], s[8:9], v[12:13]
	s_wait_alu 0xfffd
	v_cndmask_b32_e64 v8, 0, 1, vcc_lo
	v_cmp_gt_i32_e32 vcc_lo, 1, v16
	s_delay_alu instid0(VALU_DEP_2) | instskip(SKIP_4) | instid1(VALU_DEP_3)
	v_lshl_or_b32 v8, v8, 9, 0x7c00
	s_wait_alu 0xfffd
	v_cndmask_b32_e32 v15, v18, v15, vcc_lo
	v_cmp_gt_i32_e32 vcc_lo, 31, v29
	v_lshrrev_b32_e32 v18, 16, v17
	v_and_b32_e32 v6, 7, v15
	s_wait_alu 0xfffd
	v_cndmask_b32_e32 v14, 0x7c00, v14, vcc_lo
	v_cmp_eq_u32_e32 vcc_lo, 0x40f, v29
	v_lshrrev_b32_e32 v29, 16, v21
	v_cmp_eq_u32_e64 s0, 3, v6
	s_wait_alu 0xfffd
	v_cndmask_b32_e32 v24, v14, v8, vcc_lo
	v_mul_f16_e32 v8, v30, v18
	v_and_or_b32 v14, 0x1ff, v23, v22
	v_cmp_lt_i32_e32 vcc_lo, 5, v6
	v_lshrrev_b32_e32 v6, 2, v15
	v_lshrrev_b32_e32 v15, 8, v23
	v_fmac_f16_e32 v8, v103, v17
	v_cmp_ne_u32_e64 s1, 0, v14
	s_or_b32 vcc_lo, s0, vcc_lo
	v_bfe_u32 v22, v23, 20, 11
	s_wait_alu 0xfffe
	v_add_co_ci_u32_e32 v6, vcc_lo, 0, v6, vcc_lo
	v_cndmask_b32_e64 v14, 0, 1, s1
	v_cvt_f32_f16_e32 v8, v8
	v_cmp_ne_u32_e32 vcc_lo, 0, v20
	v_sub_nc_u32_e32 v26, 0x3f1, v22
	v_mul_f16_e32 v17, v30, v17
	v_and_or_b32 v25, 0xffe, v15, v14
	v_cvt_f64_f32_e32 v[14:15], v8
	s_wait_alu 0xfffd
	v_cndmask_b32_e64 v8, 0, 1, vcc_lo
	v_cmp_gt_i32_e32 vcc_lo, 31, v16
	v_med3_i32 v26, v26, 0, 13
	v_or_b32_e32 v20, 0x1000, v25
	v_and_or_b32 v9, 0x1ff, v13, v12
	v_lshl_or_b32 v8, v8, 9, 0x7c00
	s_wait_alu 0xfffd
	v_cndmask_b32_e32 v6, 0x7c00, v6, vcc_lo
	v_cmp_eq_u32_e32 vcc_lo, 0x40f, v16
	v_lshrrev_b32_e32 v28, v26, v20
	v_lshrrev_b32_e32 v21, 8, v13
	v_fma_f16 v17, v103, v18, -v17
	v_add_nc_u32_e32 v22, 0xfffffc10, v22
	s_wait_alu 0xfffd
	v_cndmask_b32_e32 v12, v6, v8, vcc_lo
	v_cmp_ne_u32_e32 vcc_lo, 0, v9
	v_lshlrev_b32_e32 v6, v26, v28
	v_bfe_u32 v26, v13, 20, 11
	v_cvt_f32_f16_e32 v17, v17
	v_and_or_b32 v12, 0x8000, v29, v12
	s_wait_alu 0xfffd
	v_cndmask_b32_e64 v16, 0, 1, vcc_lo
	v_cmp_ne_u32_e32 vcc_lo, v6, v20
	v_lshrrev_b32_e32 v29, 16, v100
	v_lshrrev_b32_e32 v23, 16, v23
	;; [unrolled: 1-line block ×3, first 2 shown]
	v_and_or_b32 v18, 0xffe, v21, v16
	v_sub_nc_u32_e32 v16, 0x3f1, v26
	s_wait_alu 0xfffd
	v_cndmask_b32_e64 v20, 0, 1, vcc_lo
	v_cmp_gt_i32_e32 vcc_lo, 1, v22
	v_add_nc_u32_e32 v26, 0xfffffc10, v26
	v_or_b32_e32 v30, 0x1000, v18
	v_med3_i32 v31, v16, 0, 13
	v_cvt_f64_f32_e32 v[16:17], v17
	s_delay_alu instid0(VALU_DEP_4) | instskip(NEXT) | instid1(VALU_DEP_3)
	v_cmp_gt_i32_e64 s1, 1, v26
	v_lshrrev_b32_e32 v32, v31, v30
	v_mul_f64_e32 v[14:15], s[8:9], v[14:15]
	s_delay_alu instid0(VALU_DEP_4) | instskip(NEXT) | instid1(VALU_DEP_2)
	v_mul_f64_e32 v[16:17], s[8:9], v[16:17]
	v_and_or_b32 v14, 0x1ff, v15, v14
	s_wait_loadcnt 0x0
	v_mad_co_u64_u32 v[8:9], null, s4, v33, 0
	s_delay_alu instid0(VALU_DEP_1) | instskip(SKIP_2) | instid1(VALU_DEP_3)
	v_mov_b32_e32 v6, v9
	v_or_b32_e32 v9, v28, v20
	v_lshl_or_b32 v28, v22, 12, v25
	v_mad_co_u64_u32 v[20:21], null, s5, v33, v[6:7]
	s_wait_alu 0xfffd
	s_delay_alu instid0(VALU_DEP_2) | instskip(SKIP_1) | instid1(VALU_DEP_2)
	v_dual_cndmask_b32 v6, v28, v9 :: v_dual_lshlrev_b32 v9, v31, v32
	v_and_or_b32 v21, 0x8000, v27, v24
	v_and_b32_e32 v24, 7, v6
	s_delay_alu instid0(VALU_DEP_3) | instskip(SKIP_1) | instid1(VALU_DEP_4)
	v_cmp_ne_u32_e32 vcc_lo, v9, v30
	v_lshrrev_b32_e32 v6, 2, v6
	v_dual_mov_b32 v9, v20 :: v_dual_and_b32 v20, 0xffff, v21
	s_delay_alu instid0(VALU_DEP_4)
	v_cmp_eq_u32_e64 s0, 3, v24
	s_wait_alu 0xfffd
	v_cndmask_b32_e64 v27, 0, 1, vcc_lo
	v_cmp_lt_i32_e32 vcc_lo, 5, v24
	v_lshlrev_b64_e32 v[8:9], 2, v[8:9]
	v_lshl_or_b32 v24, v12, 16, v20
	s_delay_alu instid0(VALU_DEP_4)
	v_or_b32_e32 v21, v32, v27
	s_or_b32 vcc_lo, s0, vcc_lo
	v_lshl_or_b32 v27, v26, 12, v18
	s_wait_alu 0xfffe
	v_add_co_ci_u32_e32 v6, vcc_lo, 0, v6, vcc_lo
	v_cmp_ne_u32_e32 vcc_lo, 0, v25
	v_lshrrev_b32_e32 v25, 16, v19
	v_cndmask_b32_e64 v12, v27, v21, s1
	v_cmp_eq_u32_e64 s1, 0x40f, v22
	v_bfe_u32 v27, v15, 20, 11
	s_wait_alu 0xfffd
	v_cndmask_b32_e64 v20, 0, 1, vcc_lo
	v_cmp_gt_i32_e32 vcc_lo, 31, v22
	v_and_b32_e32 v21, 7, v12
	v_sub_nc_u32_e32 v28, 0x3f1, v27
	s_delay_alu instid0(VALU_DEP_4)
	v_lshl_or_b32 v20, v20, 9, 0x7c00
	s_wait_alu 0xfffd
	v_cndmask_b32_e32 v6, 0x7c00, v6, vcc_lo
	v_cmp_lt_i32_e32 vcc_lo, 5, v21
	v_cmp_eq_u32_e64 s0, 3, v21
	v_med3_i32 v28, v28, 0, 13
	s_wait_alu 0xf1ff
	v_cndmask_b32_e64 v22, v6, v20, s1
	v_lshrrev_b32_e32 v6, 2, v12
	v_mul_f16_e32 v12, v29, v25
	s_or_b32 vcc_lo, s0, vcc_lo
	v_lshrrev_b32_e32 v20, 8, v15
	s_wait_alu 0xfffe
	v_add_co_ci_u32_e32 v6, vcc_lo, 0, v6, vcc_lo
	v_cmp_ne_u32_e32 vcc_lo, 0, v14
	v_fmac_f16_e32 v12, v100, v19
	s_wait_alu 0xfffd
	v_cndmask_b32_e64 v14, 0, 1, vcc_lo
	v_cmp_ne_u32_e32 vcc_lo, 0, v18
	s_delay_alu instid0(VALU_DEP_3) | instskip(NEXT) | instid1(VALU_DEP_3)
	v_cvt_f32_f16_e32 v12, v12
	v_and_or_b32 v14, 0xffe, v20, v14
	s_wait_alu 0xfffd
	v_cndmask_b32_e64 v18, 0, 1, vcc_lo
	v_cmp_gt_i32_e32 vcc_lo, 31, v26
	v_cvt_f64_f32_e32 v[20:21], v12
	s_delay_alu instid0(VALU_DEP_3) | instskip(SKIP_4) | instid1(VALU_DEP_2)
	v_lshl_or_b32 v12, v18, 9, 0x7c00
	s_wait_alu 0xfffd
	v_cndmask_b32_e32 v6, 0x7c00, v6, vcc_lo
	v_or_b32_e32 v18, 0x1000, v14
	v_cmp_eq_u32_e32 vcc_lo, 0x40f, v26
	v_lshrrev_b32_e32 v26, v28, v18
	s_wait_alu 0xfffd
	v_cndmask_b32_e32 v12, v6, v12, vcc_lo
	v_add_co_u32 v6, vcc_lo, v1, v8
	v_and_or_b32 v1, 0x8000, v23, v22
	s_wait_alu 0xfffd
	v_add_co_ci_u32_e32 v7, vcc_lo, v7, v9, vcc_lo
	v_and_or_b32 v22, 0x8000, v13, v12
	v_lshlrev_b32_e32 v12, v28, v26
	v_and_or_b32 v13, 0x1ff, v17, v16
	v_mad_co_u64_u32 v[8:9], null, 0xd0, s4, v[10:11]
	v_mul_f16_e32 v10, v29, v19
	s_delay_alu instid0(VALU_DEP_4)
	v_cmp_ne_u32_e32 vcc_lo, v12, v18
	v_bfe_u32 v23, v17, 20, 11
	global_store_b32 v[6:7], v24, off
	v_lshrrev_b32_e32 v24, 16, v98
	v_fma_f16 v10, v100, v25, -v10
	s_wait_alu 0xfffd
	v_cndmask_b32_e64 v11, 0, 1, vcc_lo
	v_cmp_ne_u32_e32 vcc_lo, 0, v13
	v_lshrrev_b32_e32 v13, 8, v17
	v_add_nc_u32_e32 v25, 0xfffffc10, v27
	v_cvt_f32_f16_e32 v18, v10
	v_or_b32_e32 v16, v26, v11
	s_wait_alu 0xfffd
	v_cndmask_b32_e64 v12, 0, 1, vcc_lo
	ds_load_2addr_b32 v[10:11], v5 offset0:168 offset1:220
	v_sub_nc_u32_e32 v5, 0x3f1, v23
	v_lshl_or_b32 v27, v25, 12, v14
	v_cmp_gt_i32_e32 vcc_lo, 1, v25
	v_and_or_b32 v26, 0xffe, v13, v12
	v_cvt_f64_f32_e32 v[12:13], v18
	v_mul_f64_e32 v[18:19], s[8:9], v[20:21]
	v_med3_i32 v20, v5, 0, 13
	v_and_b32_e32 v5, 0xffff, v1
	v_or_b32_e32 v28, 0x1000, v26
	v_mov_b32_e32 v1, v9
	v_lshrrev_b32_e32 v29, 16, v96
	s_delay_alu instid0(VALU_DEP_4) | instskip(NEXT) | instid1(VALU_DEP_4)
	v_lshl_or_b32 v21, v22, 16, v5
	v_lshrrev_b32_e32 v7, v20, v28
	s_wait_alu 0xfffd
	v_cndmask_b32_e32 v16, v27, v16, vcc_lo
	v_mad_co_u64_u32 v[5:6], null, 0xd0, s5, v[1:2]
	s_delay_alu instid0(VALU_DEP_3) | instskip(NEXT) | instid1(VALU_DEP_3)
	v_lshlrev_b32_e32 v1, v20, v7
	v_and_b32_e32 v9, 7, v16
	v_lshrrev_b32_e32 v6, 2, v16
	v_add_nc_u32_e32 v16, 0xfffffc10, v23
	s_delay_alu instid0(VALU_DEP_4) | instskip(NEXT) | instid1(VALU_DEP_4)
	v_cmp_ne_u32_e64 s1, v1, v28
	v_cmp_lt_i32_e32 vcc_lo, 5, v9
	v_cmp_eq_u32_e64 s0, 3, v9
	s_wait_dscnt 0x0
	v_lshrrev_b32_e32 v9, 16, v10
	s_wait_alu 0xf1ff
	v_cndmask_b32_e64 v1, 0, 1, s1
	s_or_b32 vcc_lo, s0, vcc_lo
	s_delay_alu instid0(VALU_DEP_2)
	v_mul_f16_e32 v20, v24, v9
	s_wait_alu 0xfffe
	v_add_co_ci_u32_e32 v6, vcc_lo, 0, v6, vcc_lo
	v_cmp_ne_u32_e32 vcc_lo, 0, v14
	v_or_b32_e32 v1, v7, v1
	v_lshl_or_b32 v7, v16, 12, v26
	v_fmac_f16_e32 v20, v98, v10
	v_mul_f16_e32 v10, v24, v10
	s_wait_alu 0xfffd
	v_cndmask_b32_e64 v14, 0, 1, vcc_lo
	v_cmp_gt_i32_e32 vcc_lo, 1, v16
	v_cvt_f32_f16_e32 v20, v20
	v_and_or_b32 v18, 0x1ff, v19, v18
	s_delay_alu instid0(VALU_DEP_4)
	v_lshl_or_b32 v14, v14, 9, 0x7c00
	s_wait_alu 0xfffd
	v_cndmask_b32_e32 v1, v7, v1, vcc_lo
	v_cmp_gt_i32_e32 vcc_lo, 31, v25
	v_fma_f16 v9, v98, v9, -v10
	v_cmp_ne_u32_e64 s1, 0, v18
	v_lshrrev_b32_e32 v18, 8, v19
	s_wait_alu 0xfffd
	v_dual_cndmask_b32 v22, 0x7c00, v6 :: v_dual_and_b32 v23, 7, v1
	v_mul_f64_e32 v[6:7], s[8:9], v[12:13]
	v_cvt_f64_f32_e32 v[12:13], v20
	v_cmp_eq_u32_e32 vcc_lo, 0x40f, v25
	s_delay_alu instid0(VALU_DEP_4)
	v_cmp_eq_u32_e64 s0, 3, v23
	v_lshrrev_b32_e32 v1, 2, v1
	v_cvt_f32_f16_e32 v9, v9
	v_lshrrev_b32_e32 v25, 16, v15
	s_wait_alu 0xfffd
	v_cndmask_b32_e32 v20, v22, v14, vcc_lo
	v_cmp_lt_i32_e32 vcc_lo, 5, v23
	s_wait_alu 0xf1ff
	v_cndmask_b32_e64 v14, 0, 1, s1
	v_bfe_u32 v22, v19, 20, 11
	s_or_b32 vcc_lo, s0, vcc_lo
	s_delay_alu instid0(VALU_DEP_2)
	v_and_or_b32 v18, 0xffe, v18, v14
	s_wait_alu 0xfffe
	v_add_co_ci_u32_e32 v1, vcc_lo, 0, v1, vcc_lo
	v_sub_nc_u32_e32 v14, 0x3f1, v22
	v_cmp_ne_u32_e32 vcc_lo, 0, v26
	v_or_b32_e32 v23, 0x1000, v18
	s_delay_alu instid0(VALU_DEP_3)
	v_med3_i32 v24, v14, 0, 13
	s_wait_alu 0xfffd
	v_cndmask_b32_e64 v10, 0, 1, vcc_lo
	v_cmp_gt_i32_e32 vcc_lo, 31, v16
	v_cvt_f64_f32_e32 v[14:15], v9
	v_mov_b32_e32 v9, v5
	v_lshrrev_b32_e32 v26, v24, v23
	v_lshl_or_b32 v10, v10, 9, 0x7c00
	s_wait_alu 0xfffd
	v_cndmask_b32_e32 v1, 0x7c00, v1, vcc_lo
	v_cmp_eq_u32_e32 vcc_lo, 0x40f, v16
	global_store_b32 v[8:9], v21, off
	v_lshlrev_b32_e32 v16, v24, v26
	s_wait_alu 0xfffd
	v_cndmask_b32_e32 v1, v1, v10, vcc_lo
	v_lshrrev_b32_e32 v10, 16, v17
	s_delay_alu instid0(VALU_DEP_3)
	v_cmp_ne_u32_e32 vcc_lo, v16, v23
	v_and_or_b32 v17, 0x8000, v25, v20
	v_add_nc_u32_e32 v20, 0xfffffc10, v22
	v_lshrrev_b32_e32 v22, 8, v7
	v_and_or_b32 v1, 0x8000, v10, v1
	v_and_or_b32 v10, 0x1ff, v7, v6
	v_mul_f64_e32 v[5:6], s[8:9], v[12:13]
	s_wait_alu 0xfffd
	v_cndmask_b32_e64 v16, 0, 1, vcc_lo
	ds_load_2addr_b32 v[12:13], v4 offset0:56 offset1:108
	v_bfe_u32 v23, v7, 20, 11
	v_cmp_ne_u32_e32 vcc_lo, 0, v10
	v_lshl_or_b32 v24, v20, 12, v18
	v_or_b32_e32 v16, v26, v16
	v_and_b32_e32 v17, 0xffff, v17
	v_lshrrev_b32_e32 v7, 16, v7
	s_wait_alu 0xfffd
	v_cndmask_b32_e64 v10, 0, 1, vcc_lo
	v_cmp_gt_i32_e32 vcc_lo, 1, v20
	v_lshl_or_b32 v1, v1, 16, v17
	s_delay_alu instid0(VALU_DEP_3)
	v_and_or_b32 v10, 0xffe, v22, v10
	v_sub_nc_u32_e32 v22, 0x3f1, v23
	s_wait_alu 0xfffd
	v_cndmask_b32_e32 v24, v24, v16, vcc_lo
	v_add_co_u32 v16, vcc_lo, v8, s2
	v_or_b32_e32 v25, 0x1000, v10
	v_med3_i32 v22, v22, 0, 13
	s_wait_alu 0xfffd
	v_add_co_ci_u32_e32 v17, vcc_lo, s3, v9, vcc_lo
	v_mul_f64_e32 v[8:9], s[8:9], v[14:15]
	s_wait_dscnt 0x0
	v_lshrrev_b32_e32 v21, 16, v12
	v_lshrrev_b32_e32 v26, v22, v25
	v_and_b32_e32 v27, 7, v24
	global_store_b32 v[16:17], v1, off
	v_lshrrev_b32_e32 v15, 2, v24
	v_mul_f16_e32 v1, v29, v21
	v_lshlrev_b32_e32 v14, v22, v26
	v_cmp_lt_i32_e32 vcc_lo, 5, v27
	v_cmp_eq_u32_e64 s0, 3, v27
	v_add_nc_u32_e32 v22, 0xfffffc10, v23
	v_fmac_f16_e32 v1, v96, v12
	v_cmp_ne_u32_e64 s1, v14, v25
	v_mul_f16_e32 v12, v29, v12
	s_or_b32 vcc_lo, s0, vcc_lo
	v_and_or_b32 v5, 0x1ff, v6, v5
	v_cvt_f32_f16_e32 v1, v1
	v_cndmask_b32_e64 v14, 0, 1, s1
	s_wait_alu 0xfffe
	v_add_co_ci_u32_e32 v23, vcc_lo, 0, v15, vcc_lo
	v_cmp_ne_u32_e32 vcc_lo, 0, v5
	v_lshrrev_b32_e32 v5, 8, v6
	v_or_b32_e32 v24, v26, v14
	v_cvt_f64_f32_e32 v[14:15], v1
	v_bfe_u32 v26, v6, 20, 11
	s_wait_alu 0xfffd
	v_cndmask_b32_e64 v1, 0, 1, vcc_lo
	v_cmp_ne_u32_e32 vcc_lo, 0, v18
	v_lshl_or_b32 v25, v22, 12, v10
	v_fma_f16 v12, v96, v21, -v12
	v_lshrrev_b32_e32 v6, 16, v6
	v_and_or_b32 v1, 0xffe, v5, v1
	v_sub_nc_u32_e32 v5, 0x3f1, v26
	s_wait_alu 0xfffd
	v_cndmask_b32_e64 v18, 0, 1, vcc_lo
	v_cmp_gt_i32_e32 vcc_lo, 1, v22
	v_cvt_f32_f16_e32 v12, v12
	v_or_b32_e32 v27, 0x1000, v1
	v_med3_i32 v5, v5, 0, 13
	v_lshl_or_b32 v18, v18, 9, 0x7c00
	s_wait_alu 0xfffd
	v_cndmask_b32_e32 v24, v25, v24, vcc_lo
	v_cmp_gt_i32_e32 vcc_lo, 31, v20
	v_and_or_b32 v8, 0x1ff, v9, v8
	v_lshrrev_b32_e32 v28, v5, v27
	v_bfe_u32 v21, v9, 20, 11
	v_and_b32_e32 v25, 7, v24
	s_wait_alu 0xfffd
	v_cndmask_b32_e32 v23, 0x7c00, v23, vcc_lo
	v_cmp_eq_u32_e32 vcc_lo, 0x40f, v20
	v_cmp_ne_u32_e64 s1, 0, v8
	v_lshlrev_b32_e32 v5, v5, v28
	v_cmp_eq_u32_e64 s0, 3, v25
	v_lshrrev_b32_e32 v24, 2, v24
	s_wait_alu 0xfffd
	v_cndmask_b32_e32 v20, v23, v18, vcc_lo
	v_cmp_lt_i32_e32 vcc_lo, 5, v25
	s_wait_alu 0xf1ff
	v_cndmask_b32_e64 v8, 0, 1, s1
	v_lshrrev_b32_e32 v18, 8, v9
	v_cmp_ne_u32_e64 s1, v5, v27
	v_lshrrev_b32_e32 v23, 16, v19
	s_or_b32 vcc_lo, s0, vcc_lo
	v_add_nc_u32_e32 v25, 0xfffffc10, v26
	v_and_or_b32 v26, 0xffe, v18, v8
	v_cvt_f64_f32_e32 v[18:19], v12
	s_wait_alu 0xfffe
	v_add_co_ci_u32_e32 v12, vcc_lo, 0, v24, vcc_lo
	v_cndmask_b32_e64 v5, 0, 1, s1
	v_sub_nc_u32_e32 v8, 0x3f1, v21
	v_cmp_ne_u32_e32 vcc_lo, 0, v10
	v_mul_f64_e32 v[14:15], s[8:9], v[14:15]
	v_lshl_or_b32 v24, v25, 12, v1
	v_or_b32_e32 v5, v28, v5
	v_or_b32_e32 v27, 0x1000, v26
	v_med3_i32 v8, v8, 0, 13
	s_wait_alu 0xfffd
	v_cndmask_b32_e64 v10, 0, 1, vcc_lo
	v_cmp_gt_i32_e32 vcc_lo, 1, v25
	v_and_or_b32 v20, 0x8000, v23, v20
	v_lshrrev_b32_e32 v28, 16, v90
	s_delay_alu instid0(VALU_DEP_4)
	v_lshl_or_b32 v10, v10, 9, 0x7c00
	s_wait_alu 0xfffd
	v_cndmask_b32_e32 v5, v24, v5, vcc_lo
	v_lshrrev_b32_e32 v24, v8, v27
	v_cmp_gt_i32_e32 vcc_lo, 31, v22
	v_and_b32_e32 v20, 0xffff, v20
	s_delay_alu instid0(VALU_DEP_4) | instskip(NEXT) | instid1(VALU_DEP_4)
	v_and_b32_e32 v23, 7, v5
	v_lshlrev_b32_e32 v8, v8, v24
	s_wait_alu 0xfffd
	v_cndmask_b32_e32 v12, 0x7c00, v12, vcc_lo
	v_cmp_eq_u32_e32 vcc_lo, 0x40f, v22
	v_lshrrev_b32_e32 v5, 2, v5
	v_lshrrev_b32_e32 v22, 16, v11
	v_cmp_ne_u32_e64 s0, v8, v27
	v_lshrrev_b32_e32 v27, 16, v94
	s_wait_alu 0xfffd
	v_cndmask_b32_e32 v10, v12, v10, vcc_lo
	v_cmp_lt_i32_e32 vcc_lo, 5, v23
	v_add_nc_u32_e32 v12, 0xfffffc10, v21
	s_wait_alu 0xf1ff
	v_cndmask_b32_e64 v8, 0, 1, s0
	v_cmp_eq_u32_e64 s0, 3, v23
	v_and_or_b32 v21, 0x8000, v7, v10
	s_delay_alu instid0(VALU_DEP_3) | instskip(NEXT) | instid1(VALU_DEP_3)
	v_or_b32_e32 v7, v24, v8
	s_or_b32 vcc_lo, s0, vcc_lo
	v_lshl_or_b32 v8, v12, 12, v26
	s_wait_alu 0xfffe
	v_add_co_ci_u32_e32 v5, vcc_lo, 0, v5, vcc_lo
	v_cmp_ne_u32_e32 vcc_lo, 0, v1
	v_and_or_b32 v14, 0x1ff, v15, v14
	v_lshrrev_b32_e32 v23, 8, v15
	v_bfe_u32 v24, v15, 20, 11
	v_lshrrev_b32_e32 v15, 16, v15
	s_wait_alu 0xfffd
	v_cndmask_b32_e64 v1, 0, 1, vcc_lo
	v_cmp_gt_i32_e32 vcc_lo, 1, v12
	s_delay_alu instid0(VALU_DEP_2)
	v_lshl_or_b32 v1, v1, 9, 0x7c00
	s_wait_alu 0xfffd
	v_cndmask_b32_e32 v10, v8, v7, vcc_lo
	v_mul_f64_e32 v[7:8], s[8:9], v[18:19]
	v_cmp_gt_i32_e32 vcc_lo, 31, v25
	v_mul_f16_e32 v19, v27, v22
	s_delay_alu instid0(VALU_DEP_4)
	v_and_b32_e32 v18, 7, v10
	v_lshrrev_b32_e32 v10, 2, v10
	s_wait_alu 0xfffd
	v_cndmask_b32_e32 v5, 0x7c00, v5, vcc_lo
	v_cmp_ne_u32_e32 vcc_lo, 0, v14
	v_fmac_f16_e32 v19, v94, v11
	v_cmp_eq_u32_e64 s0, 3, v18
	s_wait_alu 0xfffd
	v_cndmask_b32_e64 v14, 0, 1, vcc_lo
	v_cmp_eq_u32_e32 vcc_lo, 0x40f, v25
	s_delay_alu instid0(VALU_DEP_2)
	v_and_or_b32 v14, 0xffe, v23, v14
	s_wait_alu 0xfffd
	v_cndmask_b32_e32 v1, v5, v1, vcc_lo
	v_cmp_lt_i32_e32 vcc_lo, 5, v18
	v_cvt_f32_f16_e32 v5, v19
	v_sub_nc_u32_e32 v23, 0x3f1, v24
	v_or_b32_e32 v25, 0x1000, v14
	v_and_or_b32 v1, 0x8000, v6, v1
	s_or_b32 vcc_lo, s0, vcc_lo
	v_cvt_f64_f32_e32 v[18:19], v5
	s_wait_alu 0xfffe
	v_add_co_ci_u32_e32 v10, vcc_lo, 0, v10, vcc_lo
	v_med3_i32 v5, v23, 0, 13
	v_cmp_ne_u32_e32 vcc_lo, 0, v26
	v_mul_f16_e32 v6, v27, v11
	v_add_nc_u32_e32 v24, 0xfffffc10, v24
	s_delay_alu instid0(VALU_DEP_4)
	v_lshrrev_b32_e32 v26, v5, v25
	s_wait_alu 0xfffd
	v_cndmask_b32_e64 v23, 0, 1, vcc_lo
	v_cmp_gt_i32_e32 vcc_lo, 31, v12
	v_fma_f16 v6, v94, v22, -v6
	v_lshl_or_b32 v11, v24, 12, v14
	v_lshlrev_b32_e32 v5, v5, v26
	v_lshl_or_b32 v23, v23, 9, 0x7c00
	s_wait_alu 0xfffd
	v_cndmask_b32_e32 v10, 0x7c00, v10, vcc_lo
	v_cmp_eq_u32_e32 vcc_lo, 0x40f, v12
	v_and_or_b32 v7, 0x1ff, v8, v7
	v_bfe_u32 v22, v8, 20, 11
	v_cvt_f32_f16_e32 v6, v6
	s_wait_alu 0xfffd
	v_cndmask_b32_e32 v12, v10, v23, vcc_lo
	v_cmp_ne_u32_e32 vcc_lo, v5, v25
	v_lshrrev_b32_e32 v23, 16, v9
	v_lshrrev_b32_e32 v9, 8, v8
	s_wait_alu 0xfffd
	v_cndmask_b32_e64 v5, 0, 1, vcc_lo
	v_cmp_ne_u32_e32 vcc_lo, 0, v7
	s_delay_alu instid0(VALU_DEP_2) | instskip(SKIP_4) | instid1(VALU_DEP_3)
	v_or_b32_e32 v10, v26, v5
	s_wait_alu 0xfffd
	v_cndmask_b32_e64 v7, 0, 1, vcc_lo
	v_cmp_gt_i32_e32 vcc_lo, 1, v24
	v_cvt_f64_f32_e32 v[5:6], v6
	v_and_or_b32 v7, 0xffe, v9, v7
	v_sub_nc_u32_e32 v9, 0x3f1, v22
	s_wait_alu 0xfffd
	v_cndmask_b32_e32 v25, v11, v10, vcc_lo
	v_add_co_u32 v11, vcc_lo, v16, s6
	v_or_b32_e32 v26, 0x1000, v7
	v_med3_i32 v27, v9, 0, 13
	v_mul_f64_e32 v[9:10], s[8:9], v[18:19]
	v_lshl_or_b32 v19, v21, 16, v20
	v_and_b32_e32 v20, 7, v25
	v_and_or_b32 v18, 0x8000, v23, v12
	s_wait_alu 0xfffd
	v_add_co_ci_u32_e32 v12, vcc_lo, s7, v17, vcc_lo
	v_lshrrev_b32_e32 v17, 2, v25
	v_cmp_lt_i32_e32 vcc_lo, 5, v20
	v_cmp_eq_u32_e64 s0, 3, v20
	v_lshrrev_b32_e32 v21, v27, v26
	v_lshrrev_b32_e32 v20, 16, v13
	s_delay_alu instid0(VALU_DEP_3) | instskip(NEXT) | instid1(VALU_DEP_2)
	s_or_b32 vcc_lo, s0, vcc_lo
	v_lshlrev_b32_e32 v16, v27, v21
	s_wait_alu 0xfffe
	v_add_co_ci_u32_e32 v17, vcc_lo, 0, v17, vcc_lo
	v_cmp_ne_u32_e32 vcc_lo, 0, v14
	s_delay_alu instid0(VALU_DEP_3)
	v_cmp_ne_u32_e64 s1, v16, v26
	v_lshrrev_b32_e32 v26, 16, v92
	s_wait_alu 0xfffd
	v_cndmask_b32_e64 v14, 0, 1, vcc_lo
	s_wait_alu 0xf1ff
	v_cndmask_b32_e64 v16, 0, 1, s1
	s_delay_alu instid0(VALU_DEP_2) | instskip(SKIP_1) | instid1(VALU_DEP_3)
	v_lshl_or_b32 v14, v14, 9, 0x7c00
	v_and_b32_e32 v1, 0xffff, v1
	v_or_b32_e32 v16, v21, v16
	v_mul_f64_e32 v[5:6], s[8:9], v[5:6]
	s_delay_alu instid0(VALU_DEP_3) | instskip(SKIP_3) | instid1(VALU_DEP_3)
	v_lshl_or_b32 v1, v18, 16, v1
	v_add_nc_u32_e32 v18, 0xfffffc10, v22
	v_mul_f16_e32 v22, v26, v20
	v_and_or_b32 v9, 0x1ff, v10, v9
	v_lshl_or_b32 v21, v18, 12, v7
	v_cmp_gt_i32_e32 vcc_lo, 1, v18
	s_delay_alu instid0(VALU_DEP_4)
	v_fmac_f16_e32 v22, v92, v13
	v_mul_f16_e32 v13, v26, v13
	v_cmp_ne_u32_e64 s1, 0, v9
	s_wait_alu 0xfffd
	v_cndmask_b32_e32 v21, v21, v16, vcc_lo
	v_cmp_gt_i32_e32 vcc_lo, 31, v24
	v_fma_f16 v13, v92, v20, -v13
	s_wait_alu 0xf1ff
	v_cndmask_b32_e64 v9, 0, 1, s1
	v_and_b32_e32 v23, 7, v21
	s_wait_alu 0xfffd
	v_cndmask_b32_e32 v16, 0x7c00, v17, vcc_lo
	v_cvt_f32_f16_e32 v17, v22
	v_cmp_eq_u32_e32 vcc_lo, 0x40f, v24
	v_lshrrev_b32_e32 v22, 8, v10
	v_cmp_eq_u32_e64 s0, 3, v23
	v_lshrrev_b32_e32 v21, 2, v21
	s_wait_alu 0xfffd
	v_cndmask_b32_e32 v14, v16, v14, vcc_lo
	v_cvt_f64_f32_e32 v[16:17], v17
	v_cmp_lt_i32_e32 vcc_lo, 5, v23
	v_bfe_u32 v23, v10, 20, 11
	v_and_or_b32 v9, 0xffe, v22, v9
	s_or_b32 vcc_lo, s0, vcc_lo
	s_delay_alu instid0(VALU_DEP_2)
	v_sub_nc_u32_e32 v22, 0x3f1, v23
	s_wait_alu 0xfffe
	v_add_co_ci_u32_e32 v21, vcc_lo, 0, v21, vcc_lo
	v_cmp_ne_u32_e32 vcc_lo, 0, v7
	v_or_b32_e32 v24, 0x1000, v9
	v_med3_i32 v22, v22, 0, 13
	v_and_or_b32 v5, 0x1ff, v6, v5
	s_wait_alu 0xfffd
	v_cndmask_b32_e64 v7, 0, 1, vcc_lo
	v_cmp_gt_i32_e32 vcc_lo, 31, v18
	v_lshrrev_b32_e32 v25, v22, v24
	s_delay_alu instid0(VALU_DEP_3)
	v_lshl_or_b32 v7, v7, 9, 0x7c00
	s_wait_alu 0xfffd
	v_cndmask_b32_e32 v21, 0x7c00, v21, vcc_lo
	v_cmp_eq_u32_e32 vcc_lo, 0x40f, v18
	v_lshlrev_b32_e32 v20, v22, v25
	v_and_or_b32 v22, 0x8000, v15, v14
	v_cvt_f32_f16_e32 v15, v13
	s_wait_alu 0xfffd
	v_cndmask_b32_e32 v18, v21, v7, vcc_lo
	v_add_co_u32 v7, vcc_lo, v11, s2
	v_lshrrev_b32_e32 v21, 16, v8
	s_wait_alu 0xfffd
	v_add_co_ci_u32_e32 v8, vcc_lo, s3, v12, vcc_lo
	v_cmp_ne_u32_e32 vcc_lo, v20, v24
	v_add_nc_u32_e32 v20, 0xfffffc10, v23
	v_and_or_b32 v21, 0x8000, v21, v18
	v_lshrrev_b32_e32 v23, 8, v6
	v_bfe_u32 v24, v6, 20, 11
	v_mul_f64_e32 v[13:14], s[8:9], v[16:17]
	s_wait_alu 0xfffd
	v_cndmask_b32_e64 v18, 0, 1, vcc_lo
	v_cmp_ne_u32_e32 vcc_lo, 0, v5
	v_cvt_f64_f32_e32 v[15:16], v15
	v_lshl_or_b32 v26, v20, 12, v9
	v_and_b32_e32 v22, 0xffff, v22
	v_or_b32_e32 v25, v25, v18
	s_wait_alu 0xfffd
	v_cndmask_b32_e64 v5, 0, 1, vcc_lo
	ds_load_2addr_b32 v[17:18], v2 offset0:16 offset1:68
	v_cmp_gt_i32_e32 vcc_lo, 1, v20
	global_store_b32 v[11:12], v19, off
	global_store_b32 v[7:8], v1, off
	v_lshl_or_b32 v1, v21, 16, v22
	v_and_or_b32 v5, 0xffe, v23, v5
	v_sub_nc_u32_e32 v23, 0x3f1, v24
	s_wait_alu 0xfffd
	v_cndmask_b32_e32 v25, v26, v25, vcc_lo
	v_add_co_u32 v7, vcc_lo, v7, s6
	v_or_b32_e32 v26, 0x1000, v5
	v_med3_i32 v23, v23, 0, 13
	s_delay_alu instid0(VALU_DEP_4)
	v_and_b32_e32 v11, 7, v25
	s_wait_alu 0xfffd
	v_add_co_ci_u32_e32 v8, vcc_lo, s7, v8, vcc_lo
	v_add_nc_u32_e32 v24, 0xfffffc10, v24
	v_lshrrev_b32_e32 v12, v23, v26
	v_cmp_lt_i32_e32 vcc_lo, 5, v11
	v_cmp_eq_u32_e64 s0, 3, v11
	v_lshrrev_b32_e32 v11, 2, v25
	v_lshl_or_b32 v25, v24, 12, v5
	v_lshlrev_b32_e32 v19, v23, v12
	s_wait_dscnt 0x0
	v_lshrrev_b32_e32 v21, 16, v17
	s_or_b32 vcc_lo, s0, vcc_lo
	global_store_b32 v[7:8], v1, off
	s_wait_alu 0xfffe
	v_add_co_ci_u32_e32 v23, vcc_lo, 0, v11, vcc_lo
	v_cmp_ne_u32_e64 s1, v19, v26
	v_mul_f16_e32 v22, v28, v21
	v_lshrrev_b32_e32 v6, 16, v6
	v_and_or_b32 v13, 0x1ff, v14, v13
	s_wait_alu 0xf1ff
	v_cndmask_b32_e64 v19, 0, 1, s1
	v_fmac_f16_e32 v22, v90, v17
	v_bfe_u32 v26, v14, 20, 11
	v_cmp_eq_u32_e64 s1, 0x40f, v20
	v_cmp_ne_u32_e32 vcc_lo, 0, v13
	v_or_b32_e32 v19, v12, v19
	v_mul_f64_e32 v[11:12], s[8:9], v[15:16]
	v_cvt_f32_f16_e32 v15, v22
	v_lshrrev_b32_e32 v22, 8, v14
	s_wait_alu 0xfffd
	v_cndmask_b32_e64 v13, 0, 1, vcc_lo
	v_cmp_gt_i32_e32 vcc_lo, 1, v24
	v_cvt_f64_f32_e32 v[15:16], v15
	s_delay_alu instid0(VALU_DEP_3)
	v_and_or_b32 v13, 0xffe, v22, v13
	s_wait_alu 0xfffd
	v_cndmask_b32_e32 v19, v25, v19, vcc_lo
	v_cmp_ne_u32_e32 vcc_lo, 0, v9
	v_sub_nc_u32_e32 v22, 0x3f1, v26
	v_or_b32_e32 v27, 0x1000, v13
	s_delay_alu instid0(VALU_DEP_4)
	v_and_b32_e32 v25, 7, v19
	s_wait_alu 0xfffd
	v_cndmask_b32_e64 v9, 0, 1, vcc_lo
	v_cmp_gt_i32_e32 vcc_lo, 31, v20
	v_med3_i32 v22, v22, 0, 13
	v_lshrrev_b32_e32 v19, 2, v19
	v_cmp_eq_u32_e64 s0, 3, v25
	v_lshl_or_b32 v9, v9, 9, 0x7c00
	s_wait_alu 0xfffd
	v_cndmask_b32_e32 v23, 0x7c00, v23, vcc_lo
	v_cmp_lt_i32_e32 vcc_lo, 5, v25
	v_lshrrev_b32_e32 v25, v22, v27
	s_wait_alu 0xf1ff
	s_delay_alu instid0(VALU_DEP_3)
	v_cndmask_b32_e64 v20, v23, v9, s1
	s_or_b32 vcc_lo, s0, vcc_lo
	s_wait_alu 0xfffe
	v_add_co_ci_u32_e32 v9, vcc_lo, 0, v19, vcc_lo
	v_lshlrev_b32_e32 v19, v22, v25
	v_cmp_gt_i32_e32 vcc_lo, 31, v24
	v_lshrrev_b32_e32 v22, 16, v10
	v_mul_f16_e32 v10, v28, v17
	v_lshrrev_b32_e32 v28, 16, v81
	s_wait_alu 0xfffd
	v_cndmask_b32_e32 v17, 0x7c00, v9, vcc_lo
	v_cmp_ne_u32_e32 vcc_lo, v19, v27
	v_fma_f16 v10, v90, v21, -v10
	v_and_or_b32 v11, 0x1ff, v12, v11
	v_add_nc_u32_e32 v19, 0xfffffc10, v26
	v_bfe_u32 v26, v12, 20, 11
	s_wait_alu 0xfffd
	v_cndmask_b32_e64 v9, 0, 1, vcc_lo
	v_cmp_ne_u32_e32 vcc_lo, 0, v5
	v_cvt_f32_f16_e32 v23, v10
	v_and_or_b32 v1, 0x8000, v22, v20
	v_lshrrev_b32_e32 v27, 16, v89
	v_or_b32_e32 v21, v25, v9
	s_wait_alu 0xfffd
	v_cndmask_b32_e64 v5, 0, 1, vcc_lo
	v_cmp_ne_u32_e32 vcc_lo, 0, v11
	v_lshl_or_b32 v25, v19, 12, v13
	v_mul_f64_e32 v[9:10], s[8:9], v[15:16]
	v_cvt_f64_f32_e32 v[15:16], v23
	v_lshrrev_b32_e32 v23, 8, v12
	s_wait_alu 0xfffd
	v_cndmask_b32_e64 v11, 0, 1, vcc_lo
	v_cmp_gt_i32_e32 vcc_lo, 1, v19
	v_lshl_or_b32 v5, v5, 9, 0x7c00
	v_and_b32_e32 v1, 0xffff, v1
	v_cmp_eq_u32_e64 s1, 0x40f, v19
	v_and_or_b32 v11, 0xffe, v23, v11
	s_wait_alu 0xfffd
	v_cndmask_b32_e32 v21, v25, v21, vcc_lo
	v_sub_nc_u32_e32 v23, 0x3f1, v26
	v_cmp_eq_u32_e32 vcc_lo, 0x40f, v24
	v_lshrrev_b32_e32 v12, 16, v12
	s_delay_alu instid0(VALU_DEP_4) | instskip(NEXT) | instid1(VALU_DEP_4)
	v_and_b32_e32 v24, 7, v21
	v_med3_i32 v23, v23, 0, 13
	s_wait_alu 0xfffd
	v_cndmask_b32_e32 v5, v17, v5, vcc_lo
	v_or_b32_e32 v17, 0x1000, v11
	v_lshrrev_b32_e32 v21, 2, v21
	v_cmp_lt_i32_e32 vcc_lo, 5, v24
	v_cmp_eq_u32_e64 s0, 3, v24
	v_and_or_b32 v6, 0x8000, v6, v5
	v_lshrrev_b32_e32 v20, v23, v17
	ds_load_2addr_b32 v[4:5], v4 offset0:160 offset1:212
	s_or_b32 vcc_lo, s0, vcc_lo
	v_lshl_or_b32 v1, v6, 16, v1
	v_lshlrev_b32_e32 v22, v23, v20
	s_wait_alu 0xfffe
	v_add_co_ci_u32_e32 v21, vcc_lo, 0, v21, vcc_lo
	s_delay_alu instid0(VALU_DEP_2)
	v_cmp_ne_u32_e32 vcc_lo, v22, v17
	v_add_nc_u32_e32 v22, 0xfffffc10, v26
	s_wait_alu 0xfffd
	v_cndmask_b32_e64 v17, 0, 1, vcc_lo
	v_cmp_gt_i32_e32 vcc_lo, 31, v19
	v_and_or_b32 v9, 0x1ff, v10, v9
	v_mul_f64_e32 v[15:16], s[8:9], v[15:16]
	v_bfe_u32 v23, v10, 20, 11
	v_or_b32_e32 v17, v20, v17
	s_wait_alu 0xfffd
	v_cndmask_b32_e32 v6, 0x7c00, v21, vcc_lo
	v_cmp_ne_u32_e32 vcc_lo, 0, v13
	v_lshl_or_b32 v20, v22, 12, v11
	s_wait_dscnt 0x0
	v_lshrrev_b32_e32 v21, 16, v4
	s_wait_alu 0xfffd
	v_cndmask_b32_e64 v13, 0, 1, vcc_lo
	v_cmp_gt_i32_e32 vcc_lo, 1, v22
	s_delay_alu instid0(VALU_DEP_3) | instskip(NEXT) | instid1(VALU_DEP_3)
	v_mul_f16_e32 v24, v27, v21
	v_lshl_or_b32 v13, v13, 9, 0x7c00
	s_wait_alu 0xfffd
	v_cndmask_b32_e32 v17, v20, v17, vcc_lo
	v_cmp_ne_u32_e32 vcc_lo, 0, v9
	v_lshrrev_b32_e32 v20, 8, v10
	v_fmac_f16_e32 v24, v89, v4
	v_cndmask_b32_e64 v6, v6, v13, s1
	v_and_b32_e32 v25, 7, v17
	s_wait_alu 0xfffd
	v_cndmask_b32_e64 v9, 0, 1, vcc_lo
	v_lshrrev_b32_e32 v13, 2, v17
	v_mul_f16_e32 v4, v27, v4
	v_lshrrev_b32_e32 v10, 16, v10
	v_cmp_lt_i32_e32 vcc_lo, 5, v25
	v_and_or_b32 v9, 0xffe, v20, v9
	v_sub_nc_u32_e32 v20, 0x3f1, v23
	v_cmp_eq_u32_e64 s0, 3, v25
	v_fma_f16 v4, v89, v21, -v4
	v_add_nc_u32_e32 v23, 0xfffffc10, v23
	v_or_b32_e32 v25, 0x1000, v9
	v_med3_i32 v26, v20, 0, 13
	v_cvt_f32_f16_e32 v20, v24
	s_or_b32 vcc_lo, s0, vcc_lo
	v_lshrrev_b32_e32 v24, 16, v14
	s_wait_alu 0xfffe
	v_add_co_ci_u32_e32 v13, vcc_lo, 0, v13, vcc_lo
	v_lshrrev_b32_e32 v17, v26, v25
	v_cvt_f64_f32_e32 v[19:20], v20
	v_cmp_ne_u32_e32 vcc_lo, 0, v11
	v_and_or_b32 v15, 0x1ff, v16, v15
	v_cvt_f32_f16_e32 v4, v4
	v_lshlrev_b32_e32 v14, v26, v17
	v_lshl_or_b32 v21, v23, 12, v9
	s_wait_alu 0xfffd
	v_cndmask_b32_e64 v11, 0, 1, vcc_lo
	v_cmp_gt_i32_e32 vcc_lo, 31, v22
	v_and_or_b32 v6, 0x8000, v24, v6
	s_delay_alu instid0(VALU_DEP_3)
	v_lshl_or_b32 v11, v11, 9, 0x7c00
	s_wait_alu 0xfffd
	v_cndmask_b32_e32 v13, 0x7c00, v13, vcc_lo
	v_cmp_ne_u32_e32 vcc_lo, v14, v25
	v_bfe_u32 v25, v16, 20, 11
	v_and_b32_e32 v26, 0xffff, v6
	v_add_co_u32 v6, s1, v7, s2
	s_wait_alu 0xfffd
	v_cndmask_b32_e64 v14, 0, 1, vcc_lo
	v_cmp_eq_u32_e32 vcc_lo, 0x40f, v22
	v_lshrrev_b32_e32 v22, 8, v16
	s_wait_alu 0xf1ff
	v_add_co_ci_u32_e64 v7, s1, s3, v8, s1
	v_or_b32_e32 v17, v17, v14
	s_wait_alu 0xfffd
	v_cndmask_b32_e32 v11, v13, v11, vcc_lo
	v_cmp_ne_u32_e32 vcc_lo, 0, v15
	v_cvt_f64_f32_e32 v[13:14], v4
	v_lshrrev_b32_e32 v16, 16, v16
	s_wait_alu 0xfffd
	v_cndmask_b32_e64 v15, 0, 1, vcc_lo
	v_cmp_gt_i32_e32 vcc_lo, 1, v23
	s_delay_alu instid0(VALU_DEP_2)
	v_and_or_b32 v15, 0xffe, v22, v15
	s_wait_alu 0xfffd
	v_cndmask_b32_e32 v4, v21, v17, vcc_lo
	v_sub_nc_u32_e32 v17, 0x3f1, v25
	v_and_or_b32 v22, 0x8000, v12, v11
	v_mul_f64_e32 v[11:12], s[8:9], v[19:20]
	v_or_b32_e32 v24, 0x1000, v15
	v_and_b32_e32 v21, 7, v4
	v_med3_i32 v17, v17, 0, 13
	v_lshrrev_b32_e32 v4, 2, v4
	v_lshl_or_b32 v20, v22, 16, v26
	v_lshrrev_b32_e32 v26, 16, v86
	v_cmp_lt_i32_e32 vcc_lo, 5, v21
	v_cmp_eq_u32_e64 s0, 3, v21
	v_lshrrev_b32_e32 v19, v17, v24
	v_add_nc_u32_e32 v21, 0xfffffc10, v25
	s_delay_alu instid0(VALU_DEP_3) | instskip(NEXT) | instid1(VALU_DEP_2)
	s_or_b32 vcc_lo, s0, vcc_lo
	v_lshlrev_b32_e32 v8, v17, v19
	s_wait_alu 0xfffe
	v_add_co_ci_u32_e32 v4, vcc_lo, 0, v4, vcc_lo
	v_cmp_ne_u32_e32 vcc_lo, 0, v9
	v_lshrrev_b32_e32 v17, 16, v18
	v_lshl_or_b32 v22, v21, 12, v15
	s_wait_alu 0xfffd
	v_cndmask_b32_e64 v9, 0, 1, vcc_lo
	v_cmp_ne_u32_e32 vcc_lo, v8, v24
	v_mul_f16_e32 v24, v26, v17
	s_delay_alu instid0(VALU_DEP_3)
	v_lshl_or_b32 v25, v9, 9, 0x7c00
	s_wait_alu 0xfffd
	v_cndmask_b32_e64 v8, 0, 1, vcc_lo
	v_cmp_gt_i32_e32 vcc_lo, 31, v23
	v_fmac_f16_e32 v24, v86, v18
	v_mul_f16_e32 v18, v26, v18
	s_delay_alu instid0(VALU_DEP_4)
	v_or_b32_e32 v19, v19, v8
	s_wait_alu 0xfffd
	v_cndmask_b32_e32 v4, 0x7c00, v4, vcc_lo
	v_mul_f64_e32 v[8:9], s[8:9], v[13:14]
	v_cmp_gt_i32_e32 vcc_lo, 1, v21
	v_fma_f16 v17, v86, v17, -v18
	s_wait_alu 0xfffd
	v_cndmask_b32_e32 v19, v22, v19, vcc_lo
	v_cmp_eq_u32_e32 vcc_lo, 0x40f, v23
	v_cvt_f32_f16_e32 v23, v24
	v_and_or_b32 v24, 0x1ff, v12, v11
	v_cvt_f32_f16_e32 v17, v17
	v_and_b32_e32 v22, 7, v19
	s_wait_alu 0xfffd
	v_cndmask_b32_e32 v4, v4, v25, vcc_lo
	v_add_co_u32 v13, vcc_lo, v6, s6
	v_cmp_ne_u32_e64 s1, 0, v24
	s_wait_alu 0xfffd
	v_add_co_ci_u32_e32 v14, vcc_lo, s7, v7, vcc_lo
	v_and_or_b32 v4, 0x8000, v10, v4
	v_cvt_f64_f32_e32 v[10:11], v23
	v_cmp_lt_i32_e32 vcc_lo, 5, v22
	v_cmp_eq_u32_e64 s0, 3, v22
	v_lshrrev_b32_e32 v19, 2, v19
	s_wait_alu 0xf1ff
	v_cndmask_b32_e64 v22, 0, 1, s1
	v_lshrrev_b32_e32 v23, 8, v12
	v_bfe_u32 v24, v12, 20, 11
	s_or_b32 vcc_lo, s0, vcc_lo
	v_cvt_f64_f32_e32 v[17:18], v17
	s_wait_alu 0xfffe
	v_add_co_ci_u32_e32 v19, vcc_lo, 0, v19, vcc_lo
	v_and_or_b32 v22, 0xffe, v23, v22
	v_sub_nc_u32_e32 v23, 0x3f1, v24
	v_cmp_ne_u32_e32 vcc_lo, 0, v15
	v_add_nc_u32_e32 v24, 0xfffffc10, v24
	v_and_b32_e32 v4, 0xffff, v4
	v_or_b32_e32 v25, 0x1000, v22
	v_med3_i32 v23, v23, 0, 13
	s_wait_alu 0xfffd
	v_cndmask_b32_e64 v15, 0, 1, vcc_lo
	v_cmp_gt_i32_e32 vcc_lo, 31, v21
	v_and_or_b32 v8, 0x1ff, v9, v8
	global_store_b32 v[6:7], v1, off
	global_store_b32 v[13:14], v20, off
	v_lshrrev_b32_e32 v26, v23, v25
	v_lshl_or_b32 v15, v15, 9, 0x7c00
	s_wait_alu 0xfffd
	v_cndmask_b32_e32 v19, 0x7c00, v19, vcc_lo
	v_cmp_eq_u32_e32 vcc_lo, 0x40f, v21
	v_lshrrev_b32_e32 v21, 8, v9
	s_wait_alu 0xfffd
	s_delay_alu instid0(VALU_DEP_3)
	v_cndmask_b32_e32 v15, v19, v15, vcc_lo
	v_lshlrev_b32_e32 v19, v23, v26
	v_cmp_ne_u32_e32 vcc_lo, 0, v8
	v_bfe_u32 v23, v9, 20, 11
	v_lshrrev_b32_e32 v9, 16, v9
	v_and_or_b32 v15, 0x8000, v16, v15
	s_wait_alu 0xfffd
	v_cndmask_b32_e64 v8, 0, 1, vcc_lo
	v_cmp_ne_u32_e32 vcc_lo, v19, v25
	v_mul_f64_e32 v[10:11], s[8:9], v[10:11]
	v_lshl_or_b32 v25, v24, 12, v22
	v_lshl_or_b32 v20, v15, 16, v4
	v_and_or_b32 v8, 0xffe, v21, v8
	s_wait_alu 0xfffd
	v_cndmask_b32_e64 v19, 0, 1, vcc_lo
	v_sub_nc_u32_e32 v21, 0x3f1, v23
	v_cmp_gt_i32_e32 vcc_lo, 1, v24
	s_delay_alu instid0(VALU_DEP_3) | instskip(SKIP_1) | instid1(VALU_DEP_4)
	v_or_b32_e32 v19, v26, v19
	v_or_b32_e32 v26, 0x1000, v8
	v_med3_i32 v21, v21, 0, 13
	s_wait_alu 0xfffd
	s_delay_alu instid0(VALU_DEP_3) | instskip(SKIP_1) | instid1(VALU_DEP_3)
	v_cndmask_b32_e32 v16, v25, v19, vcc_lo
	v_add_co_u32 v6, vcc_lo, v13, s2
	v_lshrrev_b32_e32 v19, v21, v26
	s_wait_alu 0xfffd
	v_add_co_ci_u32_e32 v7, vcc_lo, s3, v14, vcc_lo
	v_and_b32_e32 v1, 7, v16
	v_mul_f64_e32 v[13:14], s[8:9], v[17:18]
	v_lshlrev_b32_e32 v4, v21, v19
	v_add_nc_u32_e32 v21, 0xfffffc10, v23
	v_lshrrev_b32_e32 v17, 16, v5
	v_cmp_lt_i32_e32 vcc_lo, 5, v1
	v_cmp_eq_u32_e64 s0, 3, v1
	v_lshrrev_b32_e32 v1, 2, v16
	v_cmp_ne_u32_e64 s1, v4, v26
	v_lshrrev_b32_e32 v25, 16, v85
	v_lshl_or_b32 v15, v21, 12, v8
	s_or_b32 vcc_lo, s0, vcc_lo
	global_store_b32 v[6:7], v20, off
	s_wait_alu 0xfffe
	v_add_co_ci_u32_e32 v1, vcc_lo, 0, v1, vcc_lo
	v_cndmask_b32_e64 v4, 0, 1, s1
	v_cmp_ne_u32_e32 vcc_lo, 0, v22
	v_mul_f16_e32 v16, v25, v17
	v_and_or_b32 v10, 0x1ff, v11, v10
	v_lshrrev_b32_e32 v22, 8, v11
	v_or_b32_e32 v4, v19, v4
	s_wait_alu 0xfffd
	v_cndmask_b32_e64 v18, 0, 1, vcc_lo
	v_cmp_gt_i32_e32 vcc_lo, 1, v21
	v_fmac_f16_e32 v16, v85, v5
	v_bfe_u32 v23, v11, 20, 11
	v_mul_f16_e32 v5, v25, v5
	v_lshl_or_b32 v18, v18, 9, 0x7c00
	s_wait_alu 0xfffd
	v_cndmask_b32_e32 v4, v15, v4, vcc_lo
	v_cmp_gt_i32_e32 vcc_lo, 31, v24
	v_cvt_f32_f16_e32 v15, v16
	v_lshrrev_b32_e32 v11, 16, v11
	s_delay_alu instid0(VALU_DEP_4)
	v_and_b32_e32 v19, 7, v4
	s_wait_alu 0xfffd
	v_cndmask_b32_e32 v1, 0x7c00, v1, vcc_lo
	v_cmp_ne_u32_e32 vcc_lo, 0, v10
	v_cvt_f64_f32_e32 v[15:16], v15
	v_lshrrev_b32_e32 v4, 2, v4
	v_cmp_eq_u32_e64 s0, 3, v19
	s_wait_alu 0xfffd
	v_cndmask_b32_e64 v10, 0, 1, vcc_lo
	v_cmp_eq_u32_e32 vcc_lo, 0x40f, v24
	v_and_or_b32 v13, 0x1ff, v14, v13
	s_delay_alu instid0(VALU_DEP_3)
	v_and_or_b32 v10, 0xffe, v22, v10
	s_wait_alu 0xfffd
	v_cndmask_b32_e32 v18, v1, v18, vcc_lo
	v_sub_nc_u32_e32 v1, 0x3f1, v23
	v_cmp_lt_i32_e32 vcc_lo, 5, v19
	v_lshrrev_b32_e32 v22, 16, v12
	v_or_b32_e32 v19, 0x1000, v10
	s_delay_alu instid0(VALU_DEP_4) | instskip(SKIP_1) | instid1(VALU_DEP_3)
	v_med3_i32 v1, v1, 0, 13
	s_or_b32 vcc_lo, s0, vcc_lo
	v_and_or_b32 v18, 0x8000, v22, v18
	s_wait_alu 0xfffe
	v_add_co_ci_u32_e32 v4, vcc_lo, 0, v4, vcc_lo
	v_lshrrev_b32_e32 v12, v1, v19
	v_cmp_gt_i32_e32 vcc_lo, 31, v21
	v_and_b32_e32 v18, 0xffff, v18
	s_delay_alu instid0(VALU_DEP_3)
	v_lshlrev_b32_e32 v1, v1, v12
	s_wait_alu 0xfffd
	v_cndmask_b32_e32 v24, 0x7c00, v4, vcc_lo
	v_cmp_ne_u32_e32 vcc_lo, 0, v13
	v_fma_f16 v4, v85, v17, -v5
	v_lshrrev_b32_e32 v13, 8, v14
	v_bfe_u32 v17, v14, 20, 11
	v_lshrrev_b32_e32 v14, 16, v14
	s_wait_alu 0xfffd
	v_cndmask_b32_e64 v5, 0, 1, vcc_lo
	v_cmp_ne_u32_e32 vcc_lo, v1, v19
	v_add_nc_u32_e32 v19, 0xfffffc10, v23
	v_cvt_f32_f16_e32 v4, v4
	s_delay_alu instid0(VALU_DEP_4)
	v_and_or_b32 v23, 0xffe, v13, v5
	s_wait_alu 0xfffd
	v_cndmask_b32_e64 v1, 0, 1, vcc_lo
	v_sub_nc_u32_e32 v13, 0x3f1, v17
	v_cmp_ne_u32_e32 vcc_lo, 0, v8
	v_lshl_or_b32 v25, v19, 12, v10
	v_or_b32_e32 v26, 0x1000, v23
	v_or_b32_e32 v1, v12, v1
	v_med3_i32 v27, v13, 0, 13
	s_wait_alu 0xfffd
	v_cndmask_b32_e64 v8, 0, 1, vcc_lo
	v_cmp_gt_i32_e32 vcc_lo, 1, v19
	v_cvt_f64_f32_e32 v[4:5], v4
	v_mul_f64_e32 v[12:13], s[8:9], v[15:16]
	v_lshrrev_b32_e32 v16, v27, v26
	v_lshl_or_b32 v8, v8, 9, 0x7c00
	s_wait_alu 0xfffd
	v_cndmask_b32_e32 v15, v25, v1, vcc_lo
	v_cmp_eq_u32_e32 vcc_lo, 0x40f, v21
	ds_load_2addr_b32 v[1:2], v2 offset0:120 offset1:172
	v_add_nc_u32_e32 v17, 0xfffffc10, v17
	s_wait_alu 0xfffd
	v_dual_cndmask_b32 v8, v24, v8 :: v_dual_and_b32 v21, 7, v15
	v_lshlrev_b32_e32 v24, v27, v16
	s_delay_alu instid0(VALU_DEP_2) | instskip(NEXT) | instid1(VALU_DEP_3)
	v_cmp_lt_i32_e32 vcc_lo, 5, v21
	v_and_or_b32 v20, 0x8000, v9, v8
	s_delay_alu instid0(VALU_DEP_3)
	v_cmp_ne_u32_e64 s0, v24, v26
	v_lshrrev_b32_e32 v9, 2, v15
	v_lshl_or_b32 v15, v17, 12, v23
	v_lshrrev_b32_e32 v26, 16, v83
	v_lshl_or_b32 v18, v20, 16, v18
	s_wait_alu 0xf1ff
	v_cndmask_b32_e64 v8, 0, 1, s0
	v_cmp_eq_u32_e64 s0, 3, v21
	s_delay_alu instid0(VALU_DEP_2) | instskip(NEXT) | instid1(VALU_DEP_2)
	v_or_b32_e32 v8, v16, v8
	s_or_b32 vcc_lo, s0, vcc_lo
	s_wait_dscnt 0x0
	v_lshrrev_b32_e32 v16, 16, v1
	s_wait_alu 0xfffe
	v_add_co_ci_u32_e32 v9, vcc_lo, 0, v9, vcc_lo
	v_cmp_gt_i32_e32 vcc_lo, 1, v17
	s_wait_alu 0xfffd
	v_cndmask_b32_e32 v8, v15, v8, vcc_lo
	v_cmp_ne_u32_e32 vcc_lo, 0, v10
	v_mul_f16_e32 v15, v26, v16
	v_mul_f64_e32 v[4:5], s[8:9], v[4:5]
	v_bfe_u32 v24, v13, 20, 11
	v_and_b32_e32 v21, 7, v8
	s_wait_alu 0xfffd
	v_cndmask_b32_e64 v10, 0, 1, vcc_lo
	v_cmp_gt_i32_e32 vcc_lo, 31, v19
	v_fmac_f16_e32 v15, v83, v1
	v_mul_f16_e32 v1, v26, v1
	v_cmp_eq_u32_e64 s0, 3, v21
	v_lshl_or_b32 v10, v10, 9, 0x7c00
	s_wait_alu 0xfffd
	v_cndmask_b32_e32 v22, 0x7c00, v9, vcc_lo
	v_and_or_b32 v9, 0x1ff, v13, v12
	v_lshrrev_b32_e32 v12, 2, v8
	v_cvt_f32_f16_e32 v8, v15
	v_cmp_lt_i32_e32 vcc_lo, 5, v21
	v_lshrrev_b32_e32 v21, 8, v13
	v_cmp_ne_u32_e64 s1, 0, v9
	v_fma_f16 v1, v83, v16, -v1
	v_cvt_f64_f32_e32 v[8:9], v8
	s_or_b32 vcc_lo, s0, vcc_lo
	v_add_nc_u32_e32 v20, 0xfffffc10, v24
	v_cndmask_b32_e64 v15, 0, 1, s1
	s_wait_alu 0xfffe
	v_add_co_ci_u32_e32 v12, vcc_lo, 0, v12, vcc_lo
	v_cmp_ne_u32_e32 vcc_lo, 0, v23
	v_cvt_f32_f16_e32 v1, v1
	v_and_or_b32 v21, 0xffe, v21, v15
	v_sub_nc_u32_e32 v15, 0x3f1, v24
	s_wait_alu 0xfffd
	v_cndmask_b32_e64 v23, 0, 1, vcc_lo
	v_cmp_gt_i32_e32 vcc_lo, 31, v17
	v_or_b32_e32 v25, 0x1000, v21
	v_med3_i32 v15, v15, 0, 13
	s_delay_alu instid0(VALU_DEP_4)
	v_lshl_or_b32 v23, v23, 9, 0x7c00
	s_wait_alu 0xfffd
	v_cndmask_b32_e32 v12, 0x7c00, v12, vcc_lo
	v_cmp_eq_u32_e32 vcc_lo, 0x40f, v19
	v_lshrrev_b32_e32 v19, v15, v25
	v_and_or_b32 v4, 0x1ff, v5, v4
	v_bfe_u32 v16, v5, 20, 11
	s_wait_alu 0xfffd
	v_cndmask_b32_e32 v10, v22, v10, vcc_lo
	v_cmp_eq_u32_e32 vcc_lo, 0x40f, v17
	v_lshlrev_b32_e32 v15, v15, v19
	s_delay_alu instid0(VALU_DEP_3) | instskip(SKIP_2) | instid1(VALU_DEP_3)
	v_and_or_b32 v17, 0x8000, v11, v10
	s_wait_alu 0xfffd
	v_cndmask_b32_e32 v12, v12, v23, vcc_lo
	v_cmp_ne_u32_e32 vcc_lo, v15, v25
	v_lshrrev_b32_e32 v11, 8, v5
	v_lshl_or_b32 v15, v20, 12, v21
	v_and_b32_e32 v17, 0xffff, v17
	v_and_or_b32 v12, 0x8000, v14, v12
	s_wait_alu 0xfffd
	v_cndmask_b32_e64 v10, 0, 1, vcc_lo
	v_cmp_ne_u32_e32 vcc_lo, 0, v4
	v_lshrrev_b32_e32 v5, 16, v5
	v_mul_f64_e32 v[8:9], s[8:9], v[8:9]
	v_lshl_or_b32 v25, v12, 16, v17
	v_or_b32_e32 v14, v19, v10
	s_wait_alu 0xfffd
	v_cndmask_b32_e64 v4, 0, 1, vcc_lo
	v_cmp_gt_i32_e32 vcc_lo, 1, v20
	s_delay_alu instid0(VALU_DEP_2)
	v_and_or_b32 v19, 0xffe, v11, v4
	v_sub_nc_u32_e32 v4, 0x3f1, v16
	v_cvt_f64_f32_e32 v[10:11], v1
	s_wait_alu 0xfffd
	v_cndmask_b32_e32 v23, v15, v14, vcc_lo
	v_add_co_u32 v6, vcc_lo, v6, s6
	v_med3_i32 v22, v4, 0, 13
	ds_load_2addr_b32 v[3:4], v3 offset0:8 offset1:60
	v_or_b32_e32 v1, 0x1000, v19
	s_wait_alu 0xfffd
	v_add_co_ci_u32_e32 v7, vcc_lo, s7, v7, vcc_lo
	v_and_b32_e32 v12, 7, v23
	v_add_co_u32 v14, vcc_lo, v6, s2
	v_lshrrev_b32_e32 v24, v22, v1
	s_wait_alu 0xfffd
	v_add_co_ci_u32_e32 v15, vcc_lo, s3, v7, vcc_lo
	v_cmp_lt_i32_e32 vcc_lo, 5, v12
	v_cmp_eq_u32_e64 s0, 3, v12
	v_lshlrev_b32_e32 v17, v22, v24
	v_lshrrev_b32_e32 v12, 2, v23
	v_add_nc_u32_e32 v22, 0xfffffc10, v16
	global_store_b32 v[6:7], v18, off
	global_store_b32 v[14:15], v25, off
	s_or_b32 vcc_lo, s0, vcc_lo
	v_cmp_ne_u32_e64 s1, v17, v1
	s_wait_alu 0xfffe
	v_add_co_ci_u32_e32 v12, vcc_lo, 0, v12, vcc_lo
	s_wait_dscnt 0x0
	v_lshrrev_b32_e32 v23, 16, v3
	v_cmp_ne_u32_e32 vcc_lo, 0, v21
	s_wait_alu 0xf1ff
	v_cndmask_b32_e64 v1, 0, 1, s1
	v_lshl_or_b32 v16, v22, 12, v19
	v_and_or_b32 v8, 0x1ff, v9, v8
	v_mul_f16_e32 v17, v28, v23
	s_wait_alu 0xfffd
	v_cndmask_b32_e64 v21, 0, 1, vcc_lo
	v_or_b32_e32 v1, v24, v1
	v_cmp_gt_i32_e32 vcc_lo, 1, v22
	v_lshrrev_b32_e32 v26, 8, v9
	v_fmac_f16_e32 v17, v81, v3
	v_lshl_or_b32 v21, v21, 9, 0x7c00
	v_bfe_u32 v27, v9, 20, 11
	s_wait_alu 0xfffd
	v_cndmask_b32_e32 v1, v16, v1, vcc_lo
	v_cmp_gt_i32_e32 vcc_lo, 31, v20
	v_mul_f64_e32 v[10:11], s[8:9], v[10:11]
	v_cvt_f32_f16_e32 v16, v17
	v_mul_f16_e32 v3, v28, v3
	v_and_b32_e32 v24, 7, v1
	s_wait_alu 0xfffd
	v_cndmask_b32_e32 v12, 0x7c00, v12, vcc_lo
	v_cmp_ne_u32_e32 vcc_lo, 0, v8
	v_cvt_f64_f32_e32 v[16:17], v16
	v_lshrrev_b32_e32 v1, 2, v1
	v_cmp_eq_u32_e64 s0, 3, v24
	v_fma_f16 v3, v81, v23, -v3
	s_wait_alu 0xfffd
	v_cndmask_b32_e64 v8, 0, 1, vcc_lo
	v_cmp_eq_u32_e32 vcc_lo, 0x40f, v20
	s_delay_alu instid0(VALU_DEP_3) | instskip(NEXT) | instid1(VALU_DEP_3)
	v_cvt_f32_f16_e32 v3, v3
	v_and_or_b32 v26, 0xffe, v26, v8
	s_wait_alu 0xfffd
	v_cndmask_b32_e32 v20, v12, v21, vcc_lo
	v_cmp_lt_i32_e32 vcc_lo, 5, v24
	v_sub_nc_u32_e32 v8, 0x3f1, v27
	v_lshrrev_b32_e32 v21, 16, v13
	v_or_b32_e32 v24, 0x1000, v26
	s_or_b32 vcc_lo, s0, vcc_lo
	s_delay_alu instid0(VALU_DEP_3) | instskip(SKIP_3) | instid1(VALU_DEP_3)
	v_med3_i32 v8, v8, 0, 13
	s_wait_alu 0xfffe
	v_add_co_ci_u32_e32 v1, vcc_lo, 0, v1, vcc_lo
	v_cmp_ne_u32_e32 vcc_lo, 0, v19
	v_lshrrev_b32_e32 v19, v8, v24
	s_wait_alu 0xfffd
	v_cndmask_b32_e64 v12, 0, 1, vcc_lo
	v_cmp_gt_i32_e32 vcc_lo, 31, v22
	s_delay_alu instid0(VALU_DEP_3) | instskip(NEXT) | instid1(VALU_DEP_3)
	v_lshlrev_b32_e32 v8, v8, v19
	v_lshl_or_b32 v23, v12, 9, 0x7c00
	v_cvt_f64_f32_e32 v[12:13], v3
	s_wait_alu 0xfffd
	v_cndmask_b32_e32 v1, 0x7c00, v1, vcc_lo
	v_cmp_eq_u32_e32 vcc_lo, 0x40f, v22
	v_and_or_b32 v10, 0x1ff, v11, v10
	v_and_or_b32 v3, 0x8000, v21, v20
	v_add_nc_u32_e32 v20, 0xfffffc10, v27
	v_lshrrev_b32_e32 v21, 8, v11
	s_wait_alu 0xfffd
	v_cndmask_b32_e32 v1, v1, v23, vcc_lo
	v_cmp_ne_u32_e32 vcc_lo, v8, v24
	v_mul_f64_e32 v[16:17], s[8:9], v[16:17]
	v_bfe_u32 v22, v11, 20, 11
	v_and_b32_e32 v3, 0xffff, v3
	v_and_or_b32 v1, 0x8000, v5, v1
	s_wait_alu 0xfffd
	v_cndmask_b32_e64 v8, 0, 1, vcc_lo
	v_cmp_ne_u32_e32 vcc_lo, 0, v10
	v_lshrrev_b32_e32 v24, 16, v79
	v_lshrrev_b32_e32 v11, 16, v11
	v_lshl_or_b32 v3, v1, 16, v3
	v_or_b32_e32 v5, v19, v8
	s_wait_alu 0xfffd
	v_cndmask_b32_e64 v10, 0, 1, vcc_lo
	v_lshl_or_b32 v8, v20, 12, v26
	v_cmp_gt_i32_e32 vcc_lo, 1, v20
	v_lshrrev_b32_e32 v27, 16, v75
	s_delay_alu instid0(VALU_DEP_4)
	v_and_or_b32 v19, 0xffe, v21, v10
	v_sub_nc_u32_e32 v10, 0x3f1, v22
	s_wait_alu 0xfffd
	v_cndmask_b32_e32 v21, v8, v5, vcc_lo
	v_add_co_u32 v5, vcc_lo, v14, s6
	v_or_b32_e32 v23, 0x1000, v19
	v_med3_i32 v8, v10, 0, 13
	s_delay_alu instid0(VALU_DEP_4)
	v_and_b32_e32 v1, 7, v21
	s_wait_alu 0xfffd
	v_add_co_ci_u32_e32 v6, vcc_lo, s7, v15, vcc_lo
	v_lshrrev_b32_e32 v14, 16, v2
	v_lshrrev_b32_e32 v10, v8, v23
	v_cmp_lt_i32_e32 vcc_lo, 5, v1
	v_cmp_eq_u32_e64 s0, 3, v1
	global_store_b32 v[5:6], v3, off
	v_mul_f16_e32 v1, v24, v14
	v_lshlrev_b32_e32 v15, v8, v10
	v_mul_f64_e32 v[7:8], s[8:9], v[12:13]
	v_lshrrev_b32_e32 v12, 2, v21
	s_or_b32 vcc_lo, s0, vcc_lo
	v_fmac_f16_e32 v1, v79, v2
	v_cmp_ne_u32_e64 s1, v15, v23
	v_add_nc_u32_e32 v15, 0xfffffc10, v22
	s_wait_alu 0xfffe
	v_add_co_ci_u32_e32 v18, vcc_lo, 0, v12, vcc_lo
	v_cmp_ne_u32_e32 vcc_lo, 0, v26
	s_wait_alu 0xf1ff
	v_cndmask_b32_e64 v13, 0, 1, s1
	v_cvt_f32_f16_e32 v1, v1
	v_lshl_or_b32 v21, v15, 12, v19
	v_and_or_b32 v16, 0x1ff, v17, v16
	s_wait_alu 0xfffd
	v_cndmask_b32_e64 v22, 0, 1, vcc_lo
	v_or_b32_e32 v10, v10, v13
	v_cmp_gt_i32_e32 vcc_lo, 1, v15
	v_cvt_f64_f32_e32 v[12:13], v1
	v_mul_f16_e32 v2, v24, v2
	v_lshl_or_b32 v22, v22, 9, 0x7c00
	s_wait_alu 0xfffd
	v_cndmask_b32_e32 v1, v21, v10, vcc_lo
	v_cmp_ne_u32_e32 vcc_lo, 0, v16
	v_lshrrev_b32_e32 v16, 8, v17
	v_bfe_u32 v21, v17, 20, 11
	v_fma_f16 v2, v79, v14, -v2
	v_and_b32_e32 v23, 7, v1
	s_wait_alu 0xfffd
	v_cndmask_b32_e64 v10, 0, 1, vcc_lo
	v_cmp_gt_i32_e32 vcc_lo, 31, v20
	v_lshrrev_b32_e32 v1, 2, v1
	v_lshrrev_b32_e32 v17, 16, v17
	v_cmp_eq_u32_e64 s0, 3, v23
	v_and_or_b32 v16, 0xffe, v16, v10
	v_sub_nc_u32_e32 v10, 0x3f1, v21
	s_wait_alu 0xfffd
	v_cndmask_b32_e32 v18, 0x7c00, v18, vcc_lo
	v_cmp_eq_u32_e32 vcc_lo, 0x40f, v20
	v_add_nc_u32_e32 v21, 0xfffffc10, v21
	v_or_b32_e32 v20, 0x1000, v16
	v_med3_i32 v10, v10, 0, 13
	v_and_or_b32 v7, 0x1ff, v8, v7
	s_wait_alu 0xfffd
	v_cndmask_b32_e32 v18, v18, v22, vcc_lo
	v_cmp_lt_i32_e32 vcc_lo, 5, v23
	v_lshrrev_b32_e32 v22, 16, v9
	v_lshrrev_b32_e32 v23, v10, v20
	;; [unrolled: 1-line block ×3, first 2 shown]
	v_bfe_u32 v14, v8, 20, 11
	s_or_b32 vcc_lo, s0, vcc_lo
	v_and_or_b32 v3, 0x8000, v22, v18
	s_wait_alu 0xfffe
	v_add_co_ci_u32_e32 v24, vcc_lo, 0, v1, vcc_lo
	v_lshlrev_b32_e32 v1, v10, v23
	v_cmp_ne_u32_e32 vcc_lo, 0, v7
	v_cvt_f32_f16_e32 v10, v2
	v_sub_nc_u32_e32 v25, 0x3f1, v14
	v_add_nc_u32_e32 v14, 0xfffffc10, v14
	s_wait_alu 0xfffd
	v_cndmask_b32_e64 v7, 0, 1, vcc_lo
	v_cmp_ne_u32_e32 vcc_lo, v1, v20
	v_mul_f64_e32 v[1:2], s[8:9], v[12:13]
	s_delay_alu instid0(VALU_DEP_3)
	v_and_or_b32 v7, 0xffe, v9, v7
	s_wait_alu 0xfffd
	v_cndmask_b32_e64 v20, 0, 1, vcc_lo
	v_cmp_ne_u32_e32 vcc_lo, 0, v19
	v_lshl_or_b32 v19, v21, 12, v16
	v_cvt_f64_f32_e32 v[9:10], v10
	s_delay_alu instid0(VALU_DEP_4)
	v_or_b32_e32 v13, v23, v20
	s_wait_alu 0xfffd
	v_cndmask_b32_e64 v12, 0, 1, vcc_lo
	v_cmp_gt_i32_e32 vcc_lo, 31, v15
	v_or_b32_e32 v20, 0x1000, v7
	v_med3_i32 v23, v25, 0, 13
	s_delay_alu instid0(VALU_DEP_4)
	v_lshl_or_b32 v12, v12, 9, 0x7c00
	s_wait_alu 0xfffd
	v_cndmask_b32_e32 v24, 0x7c00, v24, vcc_lo
	v_cmp_gt_i32_e32 vcc_lo, 1, v21
	s_wait_alu 0xfffd
	v_cndmask_b32_e32 v13, v19, v13, vcc_lo
	v_lshrrev_b32_e32 v19, v23, v20
	v_cmp_eq_u32_e32 vcc_lo, 0x40f, v15
	s_delay_alu instid0(VALU_DEP_3) | instskip(SKIP_1) | instid1(VALU_DEP_3)
	v_and_b32_e32 v15, 7, v13
	s_wait_alu 0xfffd
	v_dual_cndmask_b32 v12, v24, v12 :: v_dual_lshlrev_b32 v23, v23, v19
	s_delay_alu instid0(VALU_DEP_2) | instskip(NEXT) | instid1(VALU_DEP_2)
	v_cmp_lt_i32_e32 vcc_lo, 5, v15
	v_cmp_ne_u32_e64 s0, v23, v20
	s_delay_alu instid0(VALU_DEP_3)
	v_and_or_b32 v18, 0x8000, v11, v12
	v_lshl_or_b32 v12, v14, 12, v7
	v_lshrrev_b32_e32 v23, 16, v77
	s_wait_alu 0xf1ff
	v_cndmask_b32_e64 v11, 0, 1, s0
	v_cmp_eq_u32_e64 s0, 3, v15
	v_and_b32_e32 v15, 0xffff, v3
	v_lshrrev_b32_e32 v3, 2, v13
	v_and_or_b32 v1, 0x1ff, v2, v1
	v_or_b32_e32 v11, v19, v11
	s_or_b32 vcc_lo, s0, vcc_lo
	v_mul_f64_e32 v[9:10], s[8:9], v[9:10]
	s_wait_alu 0xfffe
	v_add_co_ci_u32_e32 v3, vcc_lo, 0, v3, vcc_lo
	v_cmp_ne_u32_e32 vcc_lo, 0, v16
	v_lshrrev_b32_e32 v16, 16, v4
	v_lshrrev_b32_e32 v20, 8, v2
	v_bfe_u32 v22, v2, 20, 11
	v_lshl_or_b32 v18, v18, 16, v15
	s_wait_alu 0xfffd
	v_cndmask_b32_e64 v13, 0, 1, vcc_lo
	v_cmp_gt_i32_e32 vcc_lo, 1, v14
	v_lshrrev_b32_e32 v2, 16, v2
	s_wait_alu 0xfffd
	v_cndmask_b32_e32 v11, v12, v11, vcc_lo
	v_cmp_gt_i32_e32 vcc_lo, 31, v21
	v_lshl_or_b32 v12, v13, 9, 0x7c00
	v_mul_f16_e32 v13, v23, v16
	s_delay_alu instid0(VALU_DEP_4)
	v_and_b32_e32 v19, 7, v11
	s_wait_alu 0xfffd
	v_cndmask_b32_e32 v3, 0x7c00, v3, vcc_lo
	v_cmp_ne_u32_e32 vcc_lo, 0, v1
	v_fmac_f16_e32 v13, v77, v4
	v_cmp_eq_u32_e64 s0, 3, v19
	s_wait_alu 0xfffd
	v_cndmask_b32_e64 v1, 0, 1, vcc_lo
	v_cmp_eq_u32_e32 vcc_lo, 0x40f, v21
	s_delay_alu instid0(VALU_DEP_2)
	v_and_or_b32 v1, 0xffe, v20, v1
	s_wait_alu 0xfffd
	v_cndmask_b32_e32 v3, v3, v12, vcc_lo
	v_cvt_f32_f16_e32 v12, v13
	v_cmp_lt_i32_e32 vcc_lo, 5, v19
	v_lshrrev_b32_e32 v19, 2, v11
	v_sub_nc_u32_e32 v13, 0x3f1, v22
	v_or_b32_e32 v20, 0x1000, v1
	v_cvt_f64_f32_e32 v[11:12], v12
	s_or_b32 vcc_lo, s0, vcc_lo
	v_and_or_b32 v17, 0x8000, v17, v3
	s_wait_alu 0xfffe
	v_add_co_ci_u32_e32 v19, vcc_lo, 0, v19, vcc_lo
	v_med3_i32 v13, v13, 0, 13
	v_cmp_ne_u32_e32 vcc_lo, 0, v7
	v_mul_f16_e32 v3, v23, v4
	s_delay_alu instid0(VALU_DEP_3)
	v_lshrrev_b32_e32 v21, v13, v20
	s_wait_alu 0xfffd
	v_cndmask_b32_e64 v7, 0, 1, vcc_lo
	v_cmp_gt_i32_e32 vcc_lo, 31, v14
	v_fma_f16 v3, v77, v16, -v3
	v_lshrrev_b32_e32 v16, 8, v10
	v_lshlrev_b32_e32 v4, v13, v21
	v_lshl_or_b32 v7, v7, 9, 0x7c00
	s_wait_alu 0xfffd
	v_cndmask_b32_e32 v19, 0x7c00, v19, vcc_lo
	v_cmp_eq_u32_e32 vcc_lo, 0x40f, v14
	v_cvt_f32_f16_e32 v3, v3
	v_lshrrev_b32_e32 v14, 16, v8
	s_wait_alu 0xfffd
	v_cndmask_b32_e32 v13, v19, v7, vcc_lo
	v_and_or_b32 v7, 0x1ff, v10, v9
	v_cmp_ne_u32_e32 vcc_lo, v4, v20
	v_cvt_f64_f32_e32 v[3:4], v3
	v_add_nc_u32_e32 v9, 0xfffffc10, v22
	v_bfe_u32 v19, v10, 20, 11
	v_add_nc_u32_e32 v20, 0x1200, v72
	s_wait_alu 0xfffd
	v_cndmask_b32_e64 v8, 0, 1, vcc_lo
	v_cmp_ne_u32_e32 vcc_lo, 0, v7
	v_lshl_or_b32 v22, v9, 12, v1
	v_and_or_b32 v13, 0x8000, v14, v13
	v_and_b32_e32 v14, 0xffff, v17
	v_or_b32_e32 v21, v21, v8
	s_wait_alu 0xfffd
	v_cndmask_b32_e64 v7, 0, 1, vcc_lo
	v_cmp_gt_i32_e32 vcc_lo, 1, v9
	v_mul_f64_e32 v[11:12], s[8:9], v[11:12]
	s_delay_alu instid0(VALU_DEP_3)
	v_and_or_b32 v23, 0xffe, v16, v7
	ds_load_2addr_b32 v[7:8], v20 offset0:96 offset1:148
	v_sub_nc_u32_e32 v16, 0x3f1, v19
	s_wait_alu 0xfffd
	v_cndmask_b32_e32 v20, v22, v21, vcc_lo
	v_add_co_u32 v5, vcc_lo, v5, s2
	v_or_b32_e32 v21, 0x1000, v23
	v_med3_i32 v16, v16, 0, 13
	s_delay_alu instid0(VALU_DEP_4)
	v_and_b32_e32 v15, 7, v20
	v_lshl_or_b32 v22, v13, 16, v14
	s_wait_alu 0xfffd
	v_add_co_ci_u32_e32 v6, vcc_lo, s3, v6, vcc_lo
	v_lshrrev_b32_e32 v17, v16, v21
	v_cmp_lt_i32_e32 vcc_lo, 5, v15
	v_cmp_eq_u32_e64 s0, 3, v15
	v_lshrrev_b32_e32 v14, 2, v20
	v_add_nc_u32_e32 v19, 0xfffffc10, v19
	v_lshlrev_b32_e32 v13, v16, v17
	s_delay_alu instid0(VALU_DEP_4) | instskip(SKIP_2) | instid1(VALU_DEP_2)
	s_or_b32 vcc_lo, s0, vcc_lo
	s_wait_dscnt 0x0
	v_lshrrev_b32_e32 v24, 16, v7
	v_cmp_ne_u32_e64 s1, v13, v21
	s_wait_alu 0xfffe
	v_add_co_ci_u32_e32 v14, vcc_lo, 0, v14, vcc_lo
	v_cmp_ne_u32_e32 vcc_lo, 0, v1
	v_mul_f16_e32 v15, v27, v24
	s_wait_alu 0xf1ff
	v_cndmask_b32_e64 v13, 0, 1, s1
	v_lshl_or_b32 v16, v19, 12, v23
	v_mul_f64_e32 v[3:4], s[8:9], v[3:4]
	s_wait_alu 0xfffd
	v_cndmask_b32_e64 v1, 0, 1, vcc_lo
	v_fmac_f16_e32 v15, v75, v7
	v_or_b32_e32 v13, v17, v13
	v_cmp_gt_i32_e32 vcc_lo, 1, v19
	v_mul_f16_e32 v7, v27, v7
	v_and_or_b32 v11, 0x1ff, v12, v11
	v_lshl_or_b32 v1, v1, 9, 0x7c00
	s_wait_alu 0xfffd
	v_cndmask_b32_e32 v17, v16, v13, vcc_lo
	v_cvt_f32_f16_e32 v13, v15
	v_cmp_gt_i32_e32 vcc_lo, 31, v9
	v_cmp_ne_u32_e64 s0, 0, v11
	v_lshrrev_b32_e32 v11, 8, v12
	v_and_b32_e32 v21, 7, v17
	v_lshrrev_b32_e32 v17, 2, v17
	s_wait_alu 0xfffd
	v_cndmask_b32_e32 v20, 0x7c00, v14, vcc_lo
	v_cvt_f64_f32_e32 v[13:14], v13
	v_add_co_u32 v15, vcc_lo, v5, s6
	s_wait_alu 0xfffd
	v_add_co_ci_u32_e32 v16, vcc_lo, s7, v6, vcc_lo
	v_cmp_eq_u32_e32 vcc_lo, 0x40f, v9
	s_wait_alu 0xf1ff
	v_cndmask_b32_e64 v9, 0, 1, s0
	v_cmp_eq_u32_e64 s0, 3, v21
	v_fma_f16 v7, v75, v24, -v7
	global_store_b32 v[5:6], v18, off
	global_store_b32 v[15:16], v22, off
	s_wait_alu 0xfffd
	v_cndmask_b32_e32 v1, v20, v1, vcc_lo
	v_cmp_lt_i32_e32 vcc_lo, 5, v21
	v_bfe_u32 v20, v12, 20, 11
	v_and_or_b32 v11, 0xffe, v11, v9
	v_cvt_f32_f16_e32 v7, v7
	v_and_or_b32 v25, 0x8000, v2, v1
	s_or_b32 vcc_lo, s0, vcc_lo
	v_sub_nc_u32_e32 v9, 0x3f1, v20
	s_wait_alu 0xfffe
	v_add_co_ci_u32_e32 v17, vcc_lo, 0, v17, vcc_lo
	v_cmp_ne_u32_e32 vcc_lo, 0, v23
	v_or_b32_e32 v23, 0x1000, v11
	v_med3_i32 v9, v9, 0, 13
	v_and_or_b32 v1, 0x1ff, v4, v3
	v_add_nc_u32_e32 v20, 0xfffffc10, v20
	s_wait_alu 0xfffd
	v_cndmask_b32_e64 v21, 0, 1, vcc_lo
	v_cmp_gt_i32_e32 vcc_lo, 31, v19
	v_lshrrev_b32_e32 v26, v9, v23
	v_lshrrev_b32_e32 v12, 16, v12
	v_cmp_eq_u32_e64 s1, 0x40f, v20
	v_lshl_or_b32 v21, v21, 9, 0x7c00
	s_wait_alu 0xfffd
	v_cndmask_b32_e32 v17, 0x7c00, v17, vcc_lo
	v_cmp_eq_u32_e32 vcc_lo, 0x40f, v19
	v_lshlrev_b32_e32 v9, v9, v26
	v_lshrrev_b32_e32 v19, 8, v4
	s_wait_alu 0xfffd
	v_cndmask_b32_e32 v3, v17, v21, vcc_lo
	v_cmp_ne_u32_e32 vcc_lo, 0, v1
	v_lshrrev_b32_e32 v17, 16, v10
	v_bfe_u32 v21, v4, 20, 11
	v_mul_f64_e32 v[1:2], s[8:9], v[13:14]
	v_lshrrev_b32_e32 v4, 16, v4
	s_wait_alu 0xfffd
	v_cndmask_b32_e64 v10, 0, 1, vcc_lo
	v_cmp_ne_u32_e32 vcc_lo, v9, v23
	v_sub_nc_u32_e32 v13, 0x3f1, v21
	v_lshl_or_b32 v23, v20, 12, v11
	v_and_or_b32 v3, 0x8000, v17, v3
	v_and_or_b32 v19, 0xffe, v19, v10
	s_wait_alu 0xfffd
	v_cndmask_b32_e64 v9, 0, 1, vcc_lo
	v_cmp_gt_i32_e32 vcc_lo, 1, v20
	s_delay_alu instid0(VALU_DEP_3) | instskip(NEXT) | instid1(VALU_DEP_3)
	v_or_b32_e32 v24, 0x1000, v19
	v_or_b32_e32 v14, v26, v9
	v_cvt_f64_f32_e32 v[9:10], v7
	v_med3_i32 v7, v13, 0, 13
	s_wait_alu 0xfffd
	s_delay_alu instid0(VALU_DEP_3) | instskip(SKIP_1) | instid1(VALU_DEP_3)
	v_dual_cndmask_b32 v14, v23, v14 :: v_dual_and_b32 v13, 0xffff, v25
	v_add_co_u32 v5, vcc_lo, v15, s2
	v_lshrrev_b32_e32 v17, v7, v24
	s_delay_alu instid0(VALU_DEP_3) | instskip(NEXT) | instid1(VALU_DEP_4)
	v_lshl_or_b32 v18, v3, 16, v13
	v_and_b32_e32 v3, 7, v14
	s_wait_alu 0xfffd
	v_add_co_ci_u32_e32 v6, vcc_lo, s3, v16, vcc_lo
	v_lshlrev_b32_e32 v7, v7, v17
	v_lshrrev_b32_e32 v15, 16, v0
	v_cmp_lt_i32_e32 vcc_lo, 5, v3
	v_add_nc_u32_e32 v16, 0xfffffc10, v21
	s_delay_alu instid0(VALU_DEP_4) | instskip(SKIP_2) | instid1(VALU_DEP_2)
	v_cmp_ne_u32_e64 s0, v7, v24
	v_lshrrev_b32_e32 v24, 16, v74
	s_wait_alu 0xf1ff
	v_cndmask_b32_e64 v7, 0, 1, s0
	v_cmp_eq_u32_e64 s0, 3, v3
	v_lshrrev_b32_e32 v3, 2, v14
	v_mul_f16_e32 v13, v24, v15
	v_lshl_or_b32 v14, v16, 12, v19
	v_or_b32_e32 v7, v17, v7
	s_or_b32 vcc_lo, s0, vcc_lo
	v_and_or_b32 v1, 0x1ff, v2, v1
	s_wait_alu 0xfffe
	v_add_co_ci_u32_e32 v3, vcc_lo, 0, v3, vcc_lo
	v_cmp_gt_i32_e32 vcc_lo, 1, v16
	v_fmac_f16_e32 v13, v74, v0
	v_lshrrev_b32_e32 v17, 8, v2
	v_bfe_u32 v21, v2, 20, 11
	v_lshrrev_b32_e32 v2, 16, v2
	s_wait_alu 0xfffd
	v_cndmask_b32_e32 v7, v14, v7, vcc_lo
	v_cmp_ne_u32_e32 vcc_lo, 0, v1
	v_cvt_f32_f16_e32 v13, v13
	v_mul_f64_e32 v[9:10], s[8:9], v[9:10]
	s_delay_alu instid0(VALU_DEP_4)
	v_and_b32_e32 v22, 7, v7
	s_wait_alu 0xfffd
	v_cndmask_b32_e64 v1, 0, 1, vcc_lo
	v_cmp_ne_u32_e32 vcc_lo, 0, v11
	v_cvt_f64_f32_e32 v[13:14], v13
	v_lshrrev_b32_e32 v7, 2, v7
	v_cmp_eq_u32_e64 s0, 3, v22
	v_and_or_b32 v17, 0xffe, v17, v1
	s_wait_alu 0xfffd
	v_cndmask_b32_e64 v11, 0, 1, vcc_lo
	v_cmp_gt_i32_e32 vcc_lo, 31, v20
	v_sub_nc_u32_e32 v1, 0x3f1, v21
	v_add_nc_u32_e32 v20, 0xfffffc10, v21
	v_or_b32_e32 v23, 0x1000, v17
	v_lshl_or_b32 v11, v11, 9, 0x7c00
	s_wait_alu 0xfffd
	v_cndmask_b32_e32 v3, 0x7c00, v3, vcc_lo
	v_cmp_lt_i32_e32 vcc_lo, 5, v22
	v_med3_i32 v1, v1, 0, 13
	s_delay_alu instid0(VALU_DEP_3) | instskip(SKIP_1) | instid1(VALU_DEP_2)
	v_cndmask_b32_e64 v3, v3, v11, s1
	s_or_b32 vcc_lo, s0, vcc_lo
	v_lshrrev_b32_e32 v11, v1, v23
	s_wait_alu 0xfffe
	v_add_co_ci_u32_e32 v7, vcc_lo, 0, v7, vcc_lo
	v_cmp_ne_u32_e32 vcc_lo, 0, v19
	v_and_or_b32 v12, 0x8000, v12, v3
	v_lshlrev_b32_e32 v1, v1, v11
	s_wait_alu 0xfffd
	v_cndmask_b32_e64 v19, 0, 1, vcc_lo
	v_cmp_gt_i32_e32 vcc_lo, 31, v16
	v_and_b32_e32 v12, 0xffff, v12
	s_delay_alu instid0(VALU_DEP_3)
	v_lshl_or_b32 v19, v19, 9, 0x7c00
	s_wait_alu 0xfffd
	v_cndmask_b32_e32 v7, 0x7c00, v7, vcc_lo
	v_cmp_ne_u32_e32 vcc_lo, v1, v23
	v_and_or_b32 v9, 0x1ff, v10, v9
	v_lshrrev_b32_e32 v23, 16, v73
	s_wait_alu 0xfffd
	v_cndmask_b32_e64 v1, 0, 1, vcc_lo
	v_cmp_eq_u32_e32 vcc_lo, 0x40f, v16
	s_wait_alu 0xfffd
	v_cndmask_b32_e32 v3, v7, v19, vcc_lo
	s_delay_alu instid0(VALU_DEP_3)
	v_or_b32_e32 v7, v11, v1
	v_mul_f16_e32 v11, v24, v0
	v_mul_f64_e32 v[0:1], s[8:9], v[13:14]
	v_lshl_or_b32 v13, v20, 12, v17
	v_cmp_gt_i32_e32 vcc_lo, 1, v20
	v_bfe_u32 v14, v10, 20, 11
	v_fma_f16 v11, v74, v15, -v11
	v_and_or_b32 v15, 0x8000, v4, v3
	s_wait_alu 0xfffd
	v_cndmask_b32_e32 v7, v13, v7, vcc_lo
	v_cmp_ne_u32_e32 vcc_lo, 0, v9
	v_cvt_f32_f16_e32 v11, v11
	v_lshrrev_b32_e32 v13, 8, v10
	v_lshl_or_b32 v15, v15, 16, v12
	v_and_b32_e32 v16, 7, v7
	s_wait_alu 0xfffd
	v_cndmask_b32_e64 v9, 0, 1, vcc_lo
	v_cvt_f64_f32_e32 v[3:4], v11
	v_sub_nc_u32_e32 v11, 0x3f1, v14
	v_lshrrev_b32_e32 v7, 2, v7
	v_cmp_lt_i32_e32 vcc_lo, 5, v16
	v_and_or_b32 v9, 0xffe, v13, v9
	v_lshrrev_b32_e32 v13, 16, v8
	v_cmp_eq_u32_e64 s0, 3, v16
	v_med3_i32 v11, v11, 0, 13
	v_lshrrev_b32_e32 v10, 16, v10
	v_or_b32_e32 v19, 0x1000, v9
	v_mul_f16_e32 v21, v23, v13
	s_or_b32 vcc_lo, s0, vcc_lo
	s_wait_alu 0xfffe
	v_add_co_ci_u32_e32 v7, vcc_lo, 0, v7, vcc_lo
	v_lshrrev_b32_e32 v16, v11, v19
	v_fmac_f16_e32 v21, v73, v8
	v_cmp_ne_u32_e32 vcc_lo, 0, v17
	v_mul_f16_e32 v8, v23, v8
	s_delay_alu instid0(VALU_DEP_4) | instskip(NEXT) | instid1(VALU_DEP_4)
	v_lshlrev_b32_e32 v17, v11, v16
	v_cvt_f32_f16_e32 v11, v21
	s_wait_alu 0xfffd
	v_cndmask_b32_e64 v12, 0, 1, vcc_lo
	v_cmp_gt_i32_e32 vcc_lo, 31, v20
	v_and_or_b32 v0, 0x1ff, v1, v0
	v_fma_f16 v8, v73, v13, -v8
	s_delay_alu instid0(VALU_DEP_4)
	v_lshl_or_b32 v22, v12, 9, 0x7c00
	s_wait_alu 0xfffd
	v_cndmask_b32_e32 v21, 0x7c00, v7, vcc_lo
	v_cvt_f64_f32_e32 v[11:12], v11
	v_cmp_ne_u32_e32 vcc_lo, v17, v19
	v_add_nc_u32_e32 v17, 0xfffffc10, v14
	v_lshrrev_b32_e32 v14, 8, v1
	v_cvt_f32_f16_e32 v8, v8
	s_wait_alu 0xfffd
	v_cndmask_b32_e64 v7, 0, 1, vcc_lo
	v_cmp_ne_u32_e32 vcc_lo, 0, v0
	v_lshl_or_b32 v13, v17, 12, v9
	v_mul_f64_e32 v[3:4], s[8:9], v[3:4]
	s_delay_alu instid0(VALU_DEP_4)
	v_or_b32_e32 v7, v16, v7
	s_wait_alu 0xfffd
	v_cndmask_b32_e64 v0, 0, 1, vcc_lo
	v_bfe_u32 v16, v1, 20, 11
	v_cmp_gt_i32_e32 vcc_lo, 1, v17
	v_lshrrev_b32_e32 v1, 16, v1
	s_delay_alu instid0(VALU_DEP_4) | instskip(NEXT) | instid1(VALU_DEP_4)
	v_and_or_b32 v0, 0xffe, v14, v0
	v_sub_nc_u32_e32 v14, 0x3f1, v16
	s_wait_alu 0xfffd
	v_cndmask_b32_e32 v19, v13, v7, vcc_lo
	v_cmp_eq_u32_e32 vcc_lo, 0x40f, v20
	v_cvt_f64_f32_e32 v[7:8], v8
	v_or_b32_e32 v23, 0x1000, v0
	v_med3_i32 v24, v14, 0, 13
	v_add_nc_u32_e32 v16, 0xfffffc10, v16
	s_wait_alu 0xfffd
	v_dual_cndmask_b32 v20, v21, v22 :: v_dual_and_b32 v21, 7, v19
	v_add_co_u32 v13, vcc_lo, v5, s6
	v_lshrrev_b32_e32 v22, v24, v23
	s_wait_alu 0xfffd
	v_add_co_ci_u32_e32 v14, vcc_lo, s7, v6, vcc_lo
	v_cmp_lt_i32_e32 vcc_lo, 5, v21
	v_cmp_eq_u32_e64 s0, 3, v21
	v_lshlrev_b32_e32 v24, v24, v22
	v_and_or_b32 v20, 0x8000, v2, v20
	v_lshrrev_b32_e32 v2, 2, v19
	v_lshl_or_b32 v21, v16, 12, v0
	s_or_b32 vcc_lo, s0, vcc_lo
	v_cmp_ne_u32_e64 s1, v24, v23
	v_mul_f64_e32 v[11:12], s[8:9], v[11:12]
	s_wait_alu 0xfffe
	v_add_co_ci_u32_e32 v2, vcc_lo, 0, v2, vcc_lo
	v_cmp_ne_u32_e32 vcc_lo, 0, v9
	s_wait_alu 0xf1ff
	v_cndmask_b32_e64 v19, 0, 1, s1
	v_and_or_b32 v3, 0x1ff, v4, v3
	s_wait_alu 0xfffd
	v_cndmask_b32_e64 v9, 0, 1, vcc_lo
	v_cmp_gt_i32_e32 vcc_lo, 31, v17
	v_or_b32_e32 v19, v22, v19
	v_lshrrev_b32_e32 v22, 8, v4
	s_delay_alu instid0(VALU_DEP_4)
	v_lshl_or_b32 v9, v9, 9, 0x7c00
	s_wait_alu 0xfffd
	v_cndmask_b32_e32 v2, 0x7c00, v2, vcc_lo
	v_cmp_gt_i32_e32 vcc_lo, 1, v16
	s_wait_alu 0xfffd
	v_cndmask_b32_e32 v19, v21, v19, vcc_lo
	v_cmp_eq_u32_e32 vcc_lo, 0x40f, v17
	s_delay_alu instid0(VALU_DEP_2)
	v_and_b32_e32 v17, 7, v19
	s_wait_alu 0xfffd
	v_cndmask_b32_e32 v9, v2, v9, vcc_lo
	v_cmp_ne_u32_e32 vcc_lo, 0, v3
	v_mul_f64_e32 v[2:3], s[8:9], v[7:8]
	v_bfe_u32 v7, v4, 20, 11
	v_cmp_eq_u32_e64 s0, 3, v17
	v_and_or_b32 v8, 0x8000, v10, v9
	v_and_b32_e32 v9, 0xffff, v20
	s_wait_alu 0xfffd
	v_cndmask_b32_e64 v21, 0, 1, vcc_lo
	v_cmp_lt_i32_e32 vcc_lo, 5, v17
	v_sub_nc_u32_e32 v20, 0x3f1, v7
	v_add_nc_u32_e32 v7, 0xfffffc10, v7
	v_lshl_or_b32 v9, v8, 16, v9
	v_lshrrev_b32_e32 v8, 2, v19
	v_and_or_b32 v10, 0xffe, v22, v21
	s_or_b32 vcc_lo, s0, vcc_lo
	v_med3_i32 v19, v20, 0, 13
	v_and_or_b32 v11, 0x1ff, v12, v11
	s_wait_alu 0xfffe
	v_add_co_ci_u32_e32 v8, vcc_lo, 0, v8, vcc_lo
	v_or_b32_e32 v17, 0x1000, v10
	v_cmp_ne_u32_e32 vcc_lo, 0, v0
	v_lshrrev_b32_e32 v21, 8, v12
	v_bfe_u32 v22, v12, 20, 11
	v_lshrrev_b32_e32 v4, 16, v4
	v_lshrrev_b32_e32 v20, v19, v17
	s_wait_alu 0xfffd
	v_cndmask_b32_e64 v0, 0, 1, vcc_lo
	v_cmp_gt_i32_e32 vcc_lo, 31, v16
	s_delay_alu instid0(VALU_DEP_3) | instskip(NEXT) | instid1(VALU_DEP_3)
	v_lshlrev_b32_e32 v19, v19, v20
	v_lshl_or_b32 v0, v0, 9, 0x7c00
	s_wait_alu 0xfffd
	v_cndmask_b32_e32 v8, 0x7c00, v8, vcc_lo
	v_cmp_ne_u32_e32 vcc_lo, 0, v11
	s_wait_alu 0xfffd
	v_cndmask_b32_e64 v11, 0, 1, vcc_lo
	v_cmp_ne_u32_e32 vcc_lo, v19, v17
	v_sub_nc_u32_e32 v19, 0x3f1, v22
	v_and_or_b32 v2, 0x1ff, v3, v2
	s_delay_alu instid0(VALU_DEP_4)
	v_and_or_b32 v11, 0xffe, v21, v11
	s_wait_alu 0xfffd
	v_cndmask_b32_e64 v17, 0, 1, vcc_lo
	v_cmp_eq_u32_e32 vcc_lo, 0x40f, v16
	v_lshl_or_b32 v16, v7, 12, v10
	v_med3_i32 v19, v19, 0, 13
	v_bfe_u32 v21, v3, 20, 11
	s_wait_alu 0xfffd
	v_cndmask_b32_e32 v0, v8, v0, vcc_lo
	v_or_b32_e32 v8, v20, v17
	v_or_b32_e32 v17, 0x1000, v11
	v_cmp_gt_i32_e32 vcc_lo, 1, v7
	v_lshrrev_b32_e32 v20, 8, v3
	v_and_or_b32 v0, 0x8000, v1, v0
	v_lshrrev_b32_e32 v3, 16, v3
	s_wait_alu 0xfffd
	v_cndmask_b32_e32 v8, v16, v8, vcc_lo
	v_lshrrev_b32_e32 v16, v19, v17
	v_cmp_ne_u32_e32 vcc_lo, 0, v2
	s_delay_alu instid0(VALU_DEP_3) | instskip(NEXT) | instid1(VALU_DEP_3)
	v_and_b32_e32 v23, 7, v8
	v_lshlrev_b32_e32 v19, v19, v16
	s_wait_alu 0xfffd
	v_cndmask_b32_e64 v2, 0, 1, vcc_lo
	v_lshrrev_b32_e32 v8, 2, v8
	v_cmp_lt_i32_e32 vcc_lo, 5, v23
	v_cmp_ne_u32_e64 s0, v19, v17
	s_delay_alu instid0(VALU_DEP_4)
	v_and_or_b32 v1, 0xffe, v20, v2
	v_sub_nc_u32_e32 v2, 0x3f1, v21
	v_add_nc_u32_e32 v20, 0xfffffc10, v22
	s_wait_alu 0xf1ff
	v_cndmask_b32_e64 v17, 0, 1, s0
	v_cmp_eq_u32_e64 s0, 3, v23
	v_or_b32_e32 v19, 0x1000, v1
	v_med3_i32 v2, v2, 0, 13
	v_lshl_or_b32 v22, v20, 12, v11
	v_or_b32_e32 v16, v16, v17
	s_or_b32 vcc_lo, s0, vcc_lo
	s_wait_alu 0xfffe
	v_add_co_ci_u32_e32 v8, vcc_lo, 0, v8, vcc_lo
	v_lshrrev_b32_e32 v17, v2, v19
	v_cmp_gt_i32_e32 vcc_lo, 1, v20
	s_delay_alu instid0(VALU_DEP_2)
	v_lshlrev_b32_e32 v2, v2, v17
	s_wait_alu 0xfffd
	v_cndmask_b32_e32 v16, v22, v16, vcc_lo
	v_cmp_ne_u32_e32 vcc_lo, 0, v10
	s_wait_alu 0xfffd
	v_cndmask_b32_e64 v10, 0, 1, vcc_lo
	v_cmp_ne_u32_e32 vcc_lo, v2, v19
	v_add_nc_u32_e32 v19, 0xfffffc10, v21
	v_and_b32_e32 v21, 7, v16
	s_delay_alu instid0(VALU_DEP_4)
	v_lshl_or_b32 v10, v10, 9, 0x7c00
	s_wait_alu 0xfffd
	v_cndmask_b32_e64 v2, 0, 1, vcc_lo
	v_cmp_gt_i32_e32 vcc_lo, 31, v7
	v_cmp_gt_i32_e64 s1, 1, v19
	v_cmp_eq_u32_e64 s0, 3, v21
	s_delay_alu instid0(VALU_DEP_4)
	v_or_b32_e32 v2, v17, v2
	v_lshl_or_b32 v17, v19, 12, v1
	s_wait_alu 0xfffd
	v_cndmask_b32_e32 v8, 0x7c00, v8, vcc_lo
	v_cmp_lt_i32_e32 vcc_lo, 5, v21
	s_wait_alu 0xf1ff
	v_cndmask_b32_e64 v2, v17, v2, s1
	v_cmp_eq_u32_e64 s1, 0x40f, v7
	s_or_b32 vcc_lo, s0, vcc_lo
	s_delay_alu instid0(VALU_DEP_1)
	v_cndmask_b32_e64 v7, v8, v10, s1
	v_lshrrev_b32_e32 v8, 2, v16
	v_and_b32_e32 v10, 7, v2
	v_lshrrev_b32_e32 v2, 2, v2
	v_cmp_gt_i32_e64 s1, 31, v20
	v_and_or_b32 v4, 0x8000, v4, v7
	s_wait_alu 0xfffe
	v_add_co_ci_u32_e32 v8, vcc_lo, 0, v8, vcc_lo
	v_cmp_ne_u32_e32 vcc_lo, 0, v11
	v_cmp_eq_u32_e64 s0, 3, v10
	v_and_b32_e32 v7, 0xffff, v0
	s_wait_alu 0xf1ff
	v_cndmask_b32_e64 v8, 0x7c00, v8, s1
	s_wait_alu 0xfffd
	v_cndmask_b32_e64 v11, 0, 1, vcc_lo
	v_cmp_lt_i32_e32 vcc_lo, 5, v10
	v_lshl_or_b32 v4, v4, 16, v7
	s_delay_alu instid0(VALU_DEP_3)
	v_lshl_or_b32 v10, v11, 9, 0x7c00
	s_or_b32 vcc_lo, s0, vcc_lo
	s_wait_alu 0xfffe
	v_add_co_ci_u32_e32 v2, vcc_lo, 0, v2, vcc_lo
	v_cmp_ne_u32_e32 vcc_lo, 0, v1
	s_wait_alu 0xfffd
	v_cndmask_b32_e64 v1, 0, 1, vcc_lo
	v_cmp_eq_u32_e32 vcc_lo, 0x40f, v20
	s_delay_alu instid0(VALU_DEP_2)
	v_lshl_or_b32 v1, v1, 9, 0x7c00
	s_wait_alu 0xfffd
	v_cndmask_b32_e32 v8, v8, v10, vcc_lo
	v_cmp_gt_i32_e32 vcc_lo, 31, v19
	v_lshrrev_b32_e32 v10, 16, v12
	s_wait_alu 0xfffd
	v_cndmask_b32_e32 v2, 0x7c00, v2, vcc_lo
	v_cmp_eq_u32_e32 vcc_lo, 0x40f, v19
	s_delay_alu instid0(VALU_DEP_3) | instskip(SKIP_1) | instid1(VALU_DEP_3)
	v_and_or_b32 v8, 0x8000, v10, v8
	s_wait_alu 0xfffd
	v_cndmask_b32_e32 v2, v2, v1, vcc_lo
	v_add_co_u32 v0, vcc_lo, v13, s2
	s_wait_alu 0xfffd
	v_add_co_ci_u32_e32 v1, vcc_lo, s3, v14, vcc_lo
	s_delay_alu instid0(VALU_DEP_3) | instskip(SKIP_4) | instid1(VALU_DEP_3)
	v_and_or_b32 v7, 0x8000, v3, v2
	v_and_b32_e32 v8, 0xffff, v8
	v_add_co_u32 v2, vcc_lo, v0, s6
	s_wait_alu 0xfffd
	v_add_co_ci_u32_e32 v3, vcc_lo, s7, v1, vcc_lo
	v_lshl_or_b32 v10, v7, 16, v8
	s_delay_alu instid0(VALU_DEP_3) | instskip(SKIP_1) | instid1(VALU_DEP_3)
	v_add_co_u32 v7, vcc_lo, v2, s2
	s_wait_alu 0xfffd
	v_add_co_ci_u32_e32 v8, vcc_lo, s3, v3, vcc_lo
	global_store_b32 v[5:6], v18, off
	global_store_b32 v[13:14], v15, off
	;; [unrolled: 1-line block ×5, first 2 shown]
.LBB0_10:
	s_nop 0
	s_sendmsg sendmsg(MSG_DEALLOC_VGPRS)
	s_endpgm
	.section	.rodata,"a",@progbits
	.p2align	6, 0x0
	.amdhsa_kernel bluestein_single_fwd_len1352_dim1_half_op_CI_CI
		.amdhsa_group_segment_fixed_size 5408
		.amdhsa_private_segment_fixed_size 8
		.amdhsa_kernarg_size 104
		.amdhsa_user_sgpr_count 2
		.amdhsa_user_sgpr_dispatch_ptr 0
		.amdhsa_user_sgpr_queue_ptr 0
		.amdhsa_user_sgpr_kernarg_segment_ptr 1
		.amdhsa_user_sgpr_dispatch_id 0
		.amdhsa_user_sgpr_private_segment_size 0
		.amdhsa_wavefront_size32 1
		.amdhsa_uses_dynamic_stack 0
		.amdhsa_enable_private_segment 1
		.amdhsa_system_sgpr_workgroup_id_x 1
		.amdhsa_system_sgpr_workgroup_id_y 0
		.amdhsa_system_sgpr_workgroup_id_z 0
		.amdhsa_system_sgpr_workgroup_info 0
		.amdhsa_system_vgpr_workitem_id 0
		.amdhsa_next_free_vgpr 256
		.amdhsa_next_free_sgpr 20
		.amdhsa_reserve_vcc 1
		.amdhsa_float_round_mode_32 0
		.amdhsa_float_round_mode_16_64 0
		.amdhsa_float_denorm_mode_32 3
		.amdhsa_float_denorm_mode_16_64 3
		.amdhsa_fp16_overflow 0
		.amdhsa_workgroup_processor_mode 1
		.amdhsa_memory_ordered 1
		.amdhsa_forward_progress 0
		.amdhsa_round_robin_scheduling 0
		.amdhsa_exception_fp_ieee_invalid_op 0
		.amdhsa_exception_fp_denorm_src 0
		.amdhsa_exception_fp_ieee_div_zero 0
		.amdhsa_exception_fp_ieee_overflow 0
		.amdhsa_exception_fp_ieee_underflow 0
		.amdhsa_exception_fp_ieee_inexact 0
		.amdhsa_exception_int_div_zero 0
	.end_amdhsa_kernel
	.text
.Lfunc_end0:
	.size	bluestein_single_fwd_len1352_dim1_half_op_CI_CI, .Lfunc_end0-bluestein_single_fwd_len1352_dim1_half_op_CI_CI
                                        ; -- End function
	.section	.AMDGPU.csdata,"",@progbits
; Kernel info:
; codeLenInByte = 64284
; NumSgprs: 22
; NumVgprs: 256
; ScratchSize: 8
; MemoryBound: 0
; FloatMode: 240
; IeeeMode: 1
; LDSByteSize: 5408 bytes/workgroup (compile time only)
; SGPRBlocks: 2
; VGPRBlocks: 31
; NumSGPRsForWavesPerEU: 22
; NumVGPRsForWavesPerEU: 256
; Occupancy: 5
; WaveLimiterHint : 1
; COMPUTE_PGM_RSRC2:SCRATCH_EN: 1
; COMPUTE_PGM_RSRC2:USER_SGPR: 2
; COMPUTE_PGM_RSRC2:TRAP_HANDLER: 0
; COMPUTE_PGM_RSRC2:TGID_X_EN: 1
; COMPUTE_PGM_RSRC2:TGID_Y_EN: 0
; COMPUTE_PGM_RSRC2:TGID_Z_EN: 0
; COMPUTE_PGM_RSRC2:TIDIG_COMP_CNT: 0
	.text
	.p2alignl 7, 3214868480
	.fill 96, 4, 3214868480
	.type	__hip_cuid_37659b82d1becb4a,@object ; @__hip_cuid_37659b82d1becb4a
	.section	.bss,"aw",@nobits
	.globl	__hip_cuid_37659b82d1becb4a
__hip_cuid_37659b82d1becb4a:
	.byte	0                               ; 0x0
	.size	__hip_cuid_37659b82d1becb4a, 1

	.ident	"AMD clang version 19.0.0git (https://github.com/RadeonOpenCompute/llvm-project roc-6.4.0 25133 c7fe45cf4b819c5991fe208aaa96edf142730f1d)"
	.section	".note.GNU-stack","",@progbits
	.addrsig
	.addrsig_sym __hip_cuid_37659b82d1becb4a
	.amdgpu_metadata
---
amdhsa.kernels:
  - .args:
      - .actual_access:  read_only
        .address_space:  global
        .offset:         0
        .size:           8
        .value_kind:     global_buffer
      - .actual_access:  read_only
        .address_space:  global
        .offset:         8
        .size:           8
        .value_kind:     global_buffer
      - .actual_access:  read_only
        .address_space:  global
        .offset:         16
        .size:           8
        .value_kind:     global_buffer
      - .actual_access:  read_only
        .address_space:  global
        .offset:         24
        .size:           8
        .value_kind:     global_buffer
      - .actual_access:  read_only
        .address_space:  global
        .offset:         32
        .size:           8
        .value_kind:     global_buffer
      - .offset:         40
        .size:           8
        .value_kind:     by_value
      - .address_space:  global
        .offset:         48
        .size:           8
        .value_kind:     global_buffer
      - .address_space:  global
        .offset:         56
        .size:           8
        .value_kind:     global_buffer
      - .address_space:  global
        .offset:         64
        .size:           8
        .value_kind:     global_buffer
      - .address_space:  global
        .offset:         72
        .size:           8
        .value_kind:     global_buffer
      - .offset:         80
        .size:           4
        .value_kind:     by_value
      - .address_space:  global
        .offset:         88
        .size:           8
        .value_kind:     global_buffer
      - .address_space:  global
        .offset:         96
        .size:           8
        .value_kind:     global_buffer
    .group_segment_fixed_size: 5408
    .kernarg_segment_align: 8
    .kernarg_segment_size: 104
    .language:       OpenCL C
    .language_version:
      - 2
      - 0
    .max_flat_workgroup_size: 52
    .name:           bluestein_single_fwd_len1352_dim1_half_op_CI_CI
    .private_segment_fixed_size: 8
    .sgpr_count:     22
    .sgpr_spill_count: 0
    .symbol:         bluestein_single_fwd_len1352_dim1_half_op_CI_CI.kd
    .uniform_work_group_size: 1
    .uses_dynamic_stack: false
    .vgpr_count:     256
    .vgpr_spill_count: 1
    .wavefront_size: 32
    .workgroup_processor_mode: 1
amdhsa.target:   amdgcn-amd-amdhsa--gfx1201
amdhsa.version:
  - 1
  - 2
...

	.end_amdgpu_metadata
